;; amdgpu-corpus repo=ROCm/rocFFT kind=compiled arch=gfx1030 opt=O3
	.text
	.amdgcn_target "amdgcn-amd-amdhsa--gfx1030"
	.amdhsa_code_object_version 6
	.protected	bluestein_single_back_len1620_dim1_half_op_CI_CI ; -- Begin function bluestein_single_back_len1620_dim1_half_op_CI_CI
	.globl	bluestein_single_back_len1620_dim1_half_op_CI_CI
	.p2align	8
	.type	bluestein_single_back_len1620_dim1_half_op_CI_CI,@function
bluestein_single_back_len1620_dim1_half_op_CI_CI: ; @bluestein_single_back_len1620_dim1_half_op_CI_CI
; %bb.0:
	s_load_dwordx4 s[12:15], s[4:5], 0x28
	v_mul_u32_u24_e32 v1, 0x195, v0
	v_mov_b32_e32 v9, 0
	s_mov_b32 s0, exec_lo
	v_lshrrev_b32_e32 v1, 16, v1
	v_add_nc_u32_e32 v8, s6, v1
	s_waitcnt lgkmcnt(0)
	v_cmpx_gt_u64_e64 s[12:13], v[8:9]
	s_cbranch_execz .LBB0_34
; %bb.1:
	s_clause 0x1
	s_load_dwordx4 s[8:11], s[4:5], 0x18
	s_load_dwordx4 s[0:3], s[4:5], 0x0
	v_mul_lo_u16 v1, 0xa2, v1
	s_load_dwordx2 s[4:5], s[4:5], 0x38
	v_sub_nc_u16 v9, v0, v1
	v_and_b32_e32 v50, 0xffff, v9
	v_lshlrev_b32_e32 v42, 2, v50
	s_waitcnt lgkmcnt(0)
	s_load_dwordx4 s[16:19], s[8:9], 0x0
	s_clause 0x3
	global_load_dword v51, v42, s[0:1]
	global_load_dword v52, v42, s[0:1] offset:648
	global_load_dword v49, v42, s[0:1] offset:1296
	;; [unrolled: 1-line block ×3, first 2 shown]
	v_add_co_u32 v54, s6, s0, v42
	v_add_co_ci_u32_e64 v55, null, s1, 0, s6
	v_add_nc_u32_e32 v16, 0xa00, v42
	v_add_nc_u32_e32 v19, 0x1400, v42
	s_waitcnt lgkmcnt(0)
	v_mad_u64_u32 v[0:1], null, s18, v8, 0
	v_mad_u64_u32 v[2:3], null, s16, v50, 0
	s_mul_i32 s0, s17, 0x288
	s_mul_hi_u32 s1, s16, 0x288
	s_mul_i32 s6, s16, 0x288
	s_add_i32 s1, s1, s0
	v_mad_u64_u32 v[4:5], null, s19, v8, v[1:2]
	v_mad_u64_u32 v[5:6], null, s17, v50, v[3:4]
	v_mov_b32_e32 v1, v4
	v_add_co_u32 v4, vcc_lo, 0x800, v54
	v_lshlrev_b64 v[0:1], 2, v[0:1]
	v_mov_b32_e32 v3, v5
	v_add_co_ci_u32_e32 v5, vcc_lo, 0, v55, vcc_lo
	v_lshlrev_b64 v[2:3], 2, v[2:3]
	v_add_co_u32 v0, vcc_lo, s14, v0
	v_add_co_ci_u32_e32 v1, vcc_lo, s15, v1, vcc_lo
	v_add_co_u32 v0, vcc_lo, v0, v2
	v_add_co_ci_u32_e32 v1, vcc_lo, v1, v3, vcc_lo
	;; [unrolled: 2-line block ×3, first 2 shown]
	s_clause 0x1
	global_load_dword v10, v[0:1], off
	global_load_dword v11, v[2:3], off
	v_add_co_u32 v0, vcc_lo, v2, s6
	v_add_co_ci_u32_e32 v1, vcc_lo, s1, v3, vcc_lo
	v_add_co_u32 v2, vcc_lo, v0, s6
	v_add_co_ci_u32_e32 v3, vcc_lo, s1, v1, vcc_lo
	;; [unrolled: 2-line block ×3, first 2 shown]
	s_clause 0x1
	global_load_dword v12, v[0:1], off
	global_load_dword v13, v[2:3], off
	v_add_co_u32 v0, vcc_lo, v2, s6
	v_add_co_ci_u32_e32 v1, vcc_lo, s1, v3, vcc_lo
	s_clause 0x2
	global_load_dword v47, v[4:5], off offset:544
	global_load_dword v46, v[4:5], off offset:1192
	;; [unrolled: 1-line block ×3, first 2 shown]
	v_add_co_u32 v2, vcc_lo, v0, s6
	v_add_co_ci_u32_e32 v3, vcc_lo, s1, v1, vcc_lo
	global_load_dword v4, v[0:1], off
	v_add_co_u32 v0, vcc_lo, v2, s6
	v_add_co_ci_u32_e32 v1, vcc_lo, s1, v3, vcc_lo
	global_load_dword v5, v[2:3], off
	;; [unrolled: 3-line block ×4, first 2 shown]
	v_add_co_u32 v2, vcc_lo, v0, s6
	v_add_co_ci_u32_e32 v3, vcc_lo, s1, v1, vcc_lo
	global_load_dword v44, v[6:7], off offset:440
	global_load_dword v0, v[0:1], off
	global_load_dword v1, v[2:3], off
	s_clause 0x1
	global_load_dword v43, v[6:7], off offset:1088
	global_load_dword v41, v[6:7], off offset:1736
	v_add_nc_u32_e32 v3, 0x400, v42
	v_add_nc_u32_e32 v6, 0xe00, v42
	s_load_dwordx4 s[8:11], s[10:11], 0x0
	v_cmp_gt_u16_e32 vcc_lo, 54, v9
	s_waitcnt vmcnt(15)
	v_lshrrev_b32_e32 v2, 16, v10
	v_mul_f16_sdwa v7, v51, v10 dst_sel:DWORD dst_unused:UNUSED_PAD src0_sel:WORD_1 src1_sel:DWORD
	s_waitcnt vmcnt(14)
	v_lshrrev_b32_e32 v18, 16, v11
	v_mul_f16_sdwa v20, v52, v11 dst_sel:DWORD dst_unused:UNUSED_PAD src0_sel:WORD_1 src1_sel:DWORD
	v_mul_f16_sdwa v17, v51, v2 dst_sel:DWORD dst_unused:UNUSED_PAD src0_sel:WORD_1 src1_sel:DWORD
	v_fma_f16 v2, v51, v2, -v7
	v_mul_f16_sdwa v7, v52, v18 dst_sel:DWORD dst_unused:UNUSED_PAD src0_sel:WORD_1 src1_sel:DWORD
	v_fma_f16 v18, v52, v18, -v20
	v_fmac_f16_e32 v17, v51, v10
	v_fmac_f16_e32 v7, v52, v11
	v_pack_b32_f16 v2, v17, v2
	s_waitcnt vmcnt(13)
	v_lshrrev_b32_e32 v10, 16, v12
	v_mul_f16_sdwa v20, v49, v12 dst_sel:DWORD dst_unused:UNUSED_PAD src0_sel:WORD_1 src1_sel:DWORD
	s_waitcnt vmcnt(12)
	v_lshrrev_b32_e32 v17, 16, v13
	v_pack_b32_f16 v7, v7, v18
	v_mul_f16_sdwa v11, v49, v10 dst_sel:DWORD dst_unused:UNUSED_PAD src0_sel:WORD_1 src1_sel:DWORD
	v_fma_f16 v10, v49, v10, -v20
	v_mul_f16_sdwa v20, v48, v13 dst_sel:DWORD dst_unused:UNUSED_PAD src0_sel:WORD_1 src1_sel:DWORD
	v_fmac_f16_e32 v11, v49, v12
	s_waitcnt vmcnt(8)
	v_lshrrev_b32_e32 v18, 16, v4
	v_mul_f16_sdwa v12, v48, v17 dst_sel:DWORD dst_unused:UNUSED_PAD src0_sel:WORD_1 src1_sel:DWORD
	v_mul_f16_sdwa v21, v47, v4 dst_sel:DWORD dst_unused:UNUSED_PAD src0_sel:WORD_1 src1_sel:DWORD
	v_fma_f16 v17, v48, v17, -v20
	v_pack_b32_f16 v10, v11, v10
	v_mul_f16_sdwa v11, v47, v18 dst_sel:DWORD dst_unused:UNUSED_PAD src0_sel:WORD_1 src1_sel:DWORD
	v_fmac_f16_e32 v12, v48, v13
	v_fma_f16 v13, v47, v18, -v21
	s_waitcnt vmcnt(7)
	v_lshrrev_b32_e32 v18, 16, v5
	v_mul_f16_sdwa v20, v46, v5 dst_sel:DWORD dst_unused:UNUSED_PAD src0_sel:WORD_1 src1_sel:DWORD
	v_fmac_f16_e32 v11, v47, v4
	s_waitcnt vmcnt(6)
	v_lshrrev_b32_e32 v4, 16, v14
	v_pack_b32_f16 v12, v12, v17
	v_mul_f16_sdwa v17, v46, v18 dst_sel:DWORD dst_unused:UNUSED_PAD src0_sel:WORD_1 src1_sel:DWORD
	v_fma_f16 v18, v46, v18, -v20
	v_mul_f16_sdwa v20, v45, v14 dst_sel:DWORD dst_unused:UNUSED_PAD src0_sel:WORD_1 src1_sel:DWORD
	v_pack_b32_f16 v11, v11, v13
	v_mul_f16_sdwa v13, v45, v4 dst_sel:DWORD dst_unused:UNUSED_PAD src0_sel:WORD_1 src1_sel:DWORD
	v_fmac_f16_e32 v17, v46, v5
	s_waitcnt vmcnt(5)
	v_lshrrev_b32_e32 v5, 16, v15
	v_fma_f16 v4, v45, v4, -v20
	s_waitcnt vmcnt(4)
	v_mul_f16_sdwa v20, v44, v15 dst_sel:DWORD dst_unused:UNUSED_PAD src0_sel:WORD_1 src1_sel:DWORD
	v_fmac_f16_e32 v13, v45, v14
	s_waitcnt vmcnt(3)
	v_lshrrev_b32_e32 v14, 16, v0
	s_waitcnt vmcnt(2)
	v_lshrrev_b32_e32 v22, 16, v1
	v_mul_f16_sdwa v21, v44, v5 dst_sel:DWORD dst_unused:UNUSED_PAD src0_sel:WORD_1 src1_sel:DWORD
	v_fma_f16 v5, v44, v5, -v20
	s_waitcnt vmcnt(1)
	v_mul_f16_sdwa v20, v43, v0 dst_sel:DWORD dst_unused:UNUSED_PAD src0_sel:WORD_1 src1_sel:DWORD
	v_mul_f16_sdwa v23, v43, v14 dst_sel:DWORD dst_unused:UNUSED_PAD src0_sel:WORD_1 src1_sel:DWORD
	s_waitcnt vmcnt(0)
	v_mul_f16_sdwa v24, v41, v1 dst_sel:DWORD dst_unused:UNUSED_PAD src0_sel:WORD_1 src1_sel:DWORD
	v_mul_f16_sdwa v25, v41, v22 dst_sel:DWORD dst_unused:UNUSED_PAD src0_sel:WORD_1 src1_sel:DWORD
	v_fmac_f16_e32 v21, v44, v15
	v_fma_f16 v14, v43, v14, -v20
	v_fmac_f16_e32 v23, v43, v0
	v_fma_f16 v0, v41, v22, -v24
	v_fmac_f16_e32 v25, v41, v1
	v_pack_b32_f16 v1, v17, v18
	v_pack_b32_f16 v4, v13, v4
	;; [unrolled: 1-line block ×5, first 2 shown]
	ds_write2_b32 v42, v2, v7 offset1:162
	ds_write2_b32 v3, v10, v12 offset0:68 offset1:230
	ds_write2_b32 v16, v11, v1 offset0:8 offset1:170
	;; [unrolled: 1-line block ×4, first 2 shown]
	s_waitcnt lgkmcnt(0)
	s_barrier
	buffer_gl0_inv
	ds_read2_b32 v[0:1], v3 offset0:68 offset1:230
	ds_read2_b32 v[2:3], v16 offset0:8 offset1:170
	;; [unrolled: 1-line block ×4, first 2 shown]
	ds_read2_b32 v[10:11], v42 offset1:162
	v_mov_b32_e32 v17, 2
	v_mul_lo_u16 v12, v9, 10
	v_add_nc_u32_e32 v13, 0x1000, v42
	s_waitcnt lgkmcnt(0)
	s_barrier
	buffer_gl0_inv
	v_lshlrev_b32_sdwa v53, v17, v12 dst_sel:DWORD dst_unused:UNUSED_PAD src0_sel:DWORD src1_sel:WORD_0
	v_add_nc_u32_e32 v12, 0x500, v42
                                        ; kill: def $vgpr9 killed $sgpr0 killed $exec
	v_sub_f16_e32 v20, v0, v2
	v_add_f16_e32 v14, v2, v4
	v_sub_f16_e32 v19, v6, v4
	v_add_f16_e32 v21, v0, v6
	v_sub_f16_e32 v22, v4, v6
	v_sub_f16_e32 v23, v2, v0
	v_sub_f16_sdwa v29, v0, v2 dst_sel:DWORD dst_unused:UNUSED_PAD src0_sel:WORD_1 src1_sel:WORD_1
	v_sub_f16_sdwa v30, v6, v4 dst_sel:DWORD dst_unused:UNUSED_PAD src0_sel:WORD_1 src1_sel:WORD_1
	v_add_f16_e32 v33, v3, v5
	v_add_f16_e32 v37, v1, v7
	v_add_f16_sdwa v57, v1, v7 dst_sel:DWORD dst_unused:UNUSED_PAD src0_sel:WORD_1 src1_sel:WORD_1
	v_add_f16_sdwa v60, v3, v5 dst_sel:DWORD dst_unused:UNUSED_PAD src0_sel:WORD_1 src1_sel:WORD_1
	v_lshrrev_b32_e32 v61, 16, v11
	v_pk_add_f16 v39, v11, v1
	v_pk_add_f16 v24, v10, v0
	v_add_f16_sdwa v25, v2, v4 dst_sel:DWORD dst_unused:UNUSED_PAD src0_sel:WORD_1 src1_sel:WORD_1
	v_lshrrev_b32_e32 v26, 16, v10
	v_add_f16_sdwa v31, v0, v6 dst_sel:DWORD dst_unused:UNUSED_PAD src0_sel:WORD_1 src1_sel:WORD_1
	v_sub_f16_sdwa v34, v1, v7 dst_sel:DWORD dst_unused:UNUSED_PAD src0_sel:WORD_1 src1_sel:WORD_1
	v_sub_f16_sdwa v35, v3, v5 dst_sel:DWORD dst_unused:UNUSED_PAD src0_sel:WORD_1 src1_sel:WORD_1
	v_sub_f16_e32 v38, v3, v1
	v_sub_f16_e32 v59, v5, v7
	;; [unrolled: 1-line block ×3, first 2 shown]
	v_add_f16_e32 v19, v20, v19
	v_add_f16_e32 v20, v23, v22
	;; [unrolled: 1-line block ×3, first 2 shown]
	v_fma_f16 v14, -0.5, v14, v10
	v_fma_f16 v10, -0.5, v21, v10
	;; [unrolled: 1-line block ×5, first 2 shown]
	v_fmac_f16_e32 v61, -0.5, v57
	v_sub_f16_e32 v36, v1, v3
	v_sub_f16_e32 v40, v1, v7
	v_sub_f16_sdwa v56, v1, v3 dst_sel:DWORD dst_unused:UNUSED_PAD src0_sel:WORD_1 src1_sel:WORD_1
	v_sub_f16_sdwa v1, v3, v1 dst_sel:DWORD dst_unused:UNUSED_PAD src0_sel:WORD_1 src1_sel:WORD_1
	v_pk_add_f16 v3, v39, v3
	v_sub_f16_sdwa v15, v0, v6 dst_sel:DWORD dst_unused:UNUSED_PAD src0_sel:WORD_1 src1_sel:WORD_1
	v_sub_f16_sdwa v18, v2, v4 dst_sel:DWORD dst_unused:UNUSED_PAD src0_sel:WORD_1 src1_sel:WORD_1
	v_sub_f16_e32 v27, v0, v6
	v_sub_f16_e32 v28, v2, v4
	v_sub_f16_sdwa v0, v2, v0 dst_sel:DWORD dst_unused:UNUSED_PAD src0_sel:WORD_1 src1_sel:WORD_1
	v_sub_f16_e32 v58, v7, v5
	v_sub_f16_sdwa v64, v5, v7 dst_sel:DWORD dst_unused:UNUSED_PAD src0_sel:WORD_1 src1_sel:WORD_1
	v_fma_f16 v23, -0.5, v25, v26
	v_fmac_f16_e32 v26, -0.5, v31
	v_pk_add_f16 v2, v24, v2
	v_add_f16_e32 v24, v38, v59
	v_fmamk_f16 v33, v34, 0x3b9c, v21
	v_fmamk_f16 v37, v35, 0xbb9c, v11
	v_fmac_f16_e32 v11, 0x3b9c, v35
	v_fmamk_f16 v38, v62, 0x3b9c, v61
	v_fmac_f16_e32 v61, 0xbb9c, v62
	v_sub_f16_sdwa v32, v4, v6 dst_sel:DWORD dst_unused:UNUSED_PAD src0_sel:WORD_1 src1_sel:WORD_1
	v_sub_f16_sdwa v63, v7, v5 dst_sel:DWORD dst_unused:UNUSED_PAD src0_sel:WORD_1 src1_sel:WORD_1
	v_fmac_f16_e32 v21, 0xbb9c, v34
	v_pk_add_f16 v3, v3, v5
	v_fmamk_f16 v5, v40, 0xbb9c, v29
	v_fmac_f16_e32 v29, 0x3b9c, v40
	v_add_f16_e32 v25, v36, v58
	v_add_f16_e32 v1, v1, v64
	v_fmamk_f16 v31, v15, 0x3b9c, v14
	v_fmac_f16_e32 v14, 0xbb9c, v15
	v_pk_add_f16 v2, v2, v4
	v_fmamk_f16 v36, v28, 0x3b9c, v26
	v_fmac_f16_e32 v26, 0xbb9c, v28
	v_fmac_f16_e32 v33, 0x38b4, v35
	;; [unrolled: 1-line block ×6, first 2 shown]
	v_add_f16_e32 v0, v0, v32
	v_add_f16_e32 v30, v56, v63
	v_fmamk_f16 v32, v18, 0xbb9c, v10
	v_fmac_f16_e32 v10, 0x3b9c, v18
	v_fmac_f16_e32 v21, 0xb8b4, v35
	;; [unrolled: 1-line block ×3, first 2 shown]
	v_fmamk_f16 v4, v27, 0xbb9c, v23
	v_fmac_f16_e32 v31, 0x38b4, v18
	v_fmac_f16_e32 v14, 0xb8b4, v18
	v_pk_add_f16 v2, v2, v6
	v_fmac_f16_e32 v36, 0xb8b4, v27
	v_fmac_f16_e32 v26, 0x38b4, v27
	v_pk_add_f16 v3, v3, v7
	v_fmac_f16_e32 v5, 0xb8b4, v62
	v_fmac_f16_e32 v33, 0x34f2, v25
	;; [unrolled: 1-line block ×17, first 2 shown]
	v_pk_add_f16 v0, v2, v3
	v_pk_add_f16 v3, v2, v3 neg_lo:[0,1] neg_hi:[0,1]
	v_mul_f16_e32 v1, 0x3a79, v33
	v_mul_f16_e32 v2, 0x3b9c, v38
	;; [unrolled: 1-line block ×6, first 2 shown]
	v_fmac_f16_e32 v23, 0x38b4, v28
	v_fmac_f16_e32 v32, 0x34f2, v20
	;; [unrolled: 1-line block ×3, first 2 shown]
	v_mul_f16_e32 v7, 0x3a79, v21
	v_mul_f16_e32 v20, 0x3a79, v29
	v_fmac_f16_e32 v4, 0x34f2, v22
	v_fmac_f16_e32 v1, 0x38b4, v5
	;; [unrolled: 1-line block ×3, first 2 shown]
	v_fma_f16 v6, v61, 0x3b9c, -v6
	v_fmac_f16_e32 v15, 0x3a79, v5
	v_fmac_f16_e32 v18, 0x34f2, v38
	v_fma_f16 v5, v11, 0xbb9c, -v19
	v_fmac_f16_e32 v23, 0x34f2, v22
	v_fma_f16 v7, v29, 0x38b4, -v7
	v_fma_f16 v11, v21, 0xb8b4, -v20
	v_add_f16_e32 v19, v31, v1
	v_add_f16_e32 v20, v32, v2
	;; [unrolled: 1-line block ×8, first 2 shown]
	v_sub_f16_e32 v29, v31, v1
	v_sub_f16_e32 v2, v32, v2
	;; [unrolled: 1-line block ×8, first 2 shown]
	v_pack_b32_f16 v1, v19, v24
	v_pack_b32_f16 v5, v21, v27
	;; [unrolled: 1-line block ×8, first 2 shown]
	ds_write2_b64 v53, v[0:1], v[4:5] offset1:1
	ds_write2_b64 v53, v[2:3], v[6:7] offset0:2 offset1:3
	ds_write_b64 v53, v[10:11] offset:32
	s_waitcnt lgkmcnt(0)
	s_barrier
	buffer_gl0_inv
	ds_read2_b32 v[2:3], v42 offset1:162
	ds_read2_b32 v[0:1], v12 offset0:4 offset1:220
	ds_read2_b32 v[4:5], v13 offset0:56 offset1:218
	;; [unrolled: 1-line block ×3, first 2 shown]
	ds_read_b32 v18, v42 offset:5616
                                        ; implicit-def: $vgpr19
                                        ; implicit-def: $vgpr21
                                        ; implicit-def: $vgpr20
                                        ; implicit-def: $vgpr22
	s_and_saveexec_b32 s0, vcc_lo
	s_cbranch_execz .LBB0_3
; %bb.2:
	ds_read_b32 v33, v42 offset:1944
	ds_read_b32 v19, v42 offset:4104
	;; [unrolled: 1-line block ×3, first 2 shown]
	s_waitcnt lgkmcnt(2)
	v_lshrrev_b32_e32 v34, 16, v33
	s_waitcnt lgkmcnt(1)
	v_lshrrev_b32_e32 v21, 16, v19
	;; [unrolled: 2-line block ×3, first 2 shown]
.LBB0_3:
	s_or_b32 exec_lo, exec_lo, s0
	v_and_b32_e32 v9, 0xff, v50
	v_add_co_u32 v25, s0, 0xa2, v50
	v_mov_b32_e32 v10, 0xcccd
	v_add_co_ci_u32_e64 v26, null, 0, 0, s0
	v_mul_lo_u16 v9, 0xcd, v9
	v_add_co_u32 v27, s0, 0x144, v50
	v_add_co_ci_u32_e64 v28, null, 0, 0, s0
	v_lshrrev_b16 v23, 11, v9
	v_mul_u32_u24_sdwa v9, v25, v10 dst_sel:DWORD dst_unused:UNUSED_PAD src0_sel:WORD_0 src1_sel:DWORD
	v_add_co_u32 v69, s0, 0x1e6, v50
	v_mul_u32_u24_sdwa v12, v27, v10 dst_sel:DWORD dst_unused:UNUSED_PAD src0_sel:WORD_0 src1_sel:DWORD
	v_mul_lo_u16 v11, v23, 10
	v_lshrrev_b32_e32 v24, 19, v9
	v_mul_u32_u24_sdwa v9, v69, v10 dst_sel:DWORD dst_unused:UNUSED_PAD src0_sel:WORD_0 src1_sel:DWORD
	v_mov_b32_e32 v38, 30
	v_lshrrev_b32_e32 v29, 19, v12
	v_sub_nc_u16 v11, v50, v11
	v_mul_lo_u16 v10, v24, 10
	v_lshrrev_b32_e32 v56, 19, v9
	s_waitcnt lgkmcnt(3)
	v_lshrrev_b32_e32 v36, 16, v1
	v_mul_lo_u16 v9, v29, 10
	v_and_b32_e32 v31, 0xff, v11
	v_sub_nc_u16 v30, v25, v10
	v_mul_lo_u16 v10, v56, 10
	s_waitcnt lgkmcnt(2)
	v_lshrrev_b32_e32 v37, 16, v4
	v_sub_nc_u16 v32, v27, v9
	v_lshlrev_b32_e32 v11, 3, v31
	v_lshlrev_b16 v9, 1, v30
	v_sub_nc_u16 v57, v69, v10
	v_mul_u32_u24_sdwa v23, v23, v38 dst_sel:DWORD dst_unused:UNUSED_PAD src0_sel:WORD_0 src1_sel:DWORD
	v_lshlrev_b16 v10, 1, v32
	global_load_dwordx2 v[15:16], v11, s[2:3]
	v_lshlrev_b32_sdwa v9, v17, v9 dst_sel:DWORD dst_unused:UNUSED_PAD src0_sel:DWORD src1_sel:WORD_0
	v_mad_u16 v24, v24, 30, v30
	v_mad_u16 v29, v29, 30, v32
	v_lshlrev_b32_sdwa v10, v17, v10 dst_sel:DWORD dst_unused:UNUSED_PAD src0_sel:DWORD src1_sel:WORD_0
	s_waitcnt lgkmcnt(1)
	v_lshrrev_b32_e32 v40, 16, v6
	global_load_dwordx2 v[13:14], v9, s[2:3]
	v_lshlrev_b16 v11, 1, v57
	v_lshrrev_b32_e32 v61, 16, v5
	v_lshrrev_b32_e32 v30, 16, v7
	s_waitcnt lgkmcnt(0)
	v_lshrrev_b32_e32 v32, 16, v18
	v_add_lshl_u32 v60, v23, v31, 2
	v_lshlrev_b32_sdwa v9, v17, v11 dst_sel:DWORD dst_unused:UNUSED_PAD src0_sel:DWORD src1_sel:WORD_0
	s_clause 0x1
	global_load_dwordx2 v[11:12], v10, s[2:3]
	global_load_dwordx2 v[9:10], v9, s[2:3]
	v_lshlrev_b32_sdwa v59, v17, v24 dst_sel:DWORD dst_unused:UNUSED_PAD src0_sel:DWORD src1_sel:WORD_0
	v_lshlrev_b32_sdwa v58, v17, v29 dst_sel:DWORD dst_unused:UNUSED_PAD src0_sel:DWORD src1_sel:WORD_0
	v_lshrrev_b32_e32 v35, 16, v2
	v_lshrrev_b32_e32 v62, 16, v0
	;; [unrolled: 1-line block ×3, first 2 shown]
	v_add_co_ci_u32_e64 v70, null, 0, 0, s0
	s_waitcnt vmcnt(0)
	s_barrier
	buffer_gl0_inv
	v_mul_f16_sdwa v17, v36, v15 dst_sel:DWORD dst_unused:UNUSED_PAD src0_sel:DWORD src1_sel:WORD_1
	v_mul_f16_sdwa v23, v1, v15 dst_sel:DWORD dst_unused:UNUSED_PAD src0_sel:DWORD src1_sel:WORD_1
	;; [unrolled: 1-line block ×4, first 2 shown]
	v_fma_f16 v1, v1, v15, -v17
	v_mul_f16_sdwa v31, v40, v13 dst_sel:DWORD dst_unused:UNUSED_PAD src0_sel:DWORD src1_sel:WORD_1
	v_mul_f16_sdwa v38, v6, v13 dst_sel:DWORD dst_unused:UNUSED_PAD src0_sel:DWORD src1_sel:WORD_1
	;; [unrolled: 1-line block ×4, first 2 shown]
	v_fmac_f16_e32 v23, v36, v15
	v_fma_f16 v4, v4, v16, -v24
	v_fmac_f16_e32 v29, v37, v16
	v_fma_f16 v6, v6, v13, -v31
	v_fmac_f16_e32 v38, v40, v13
	v_mul_f16_sdwa v65, v30, v11 dst_sel:DWORD dst_unused:UNUSED_PAD src0_sel:DWORD src1_sel:WORD_1
	v_mul_f16_sdwa v66, v7, v11 dst_sel:DWORD dst_unused:UNUSED_PAD src0_sel:DWORD src1_sel:WORD_1
	;; [unrolled: 1-line block ×8, first 2 shown]
	v_fma_f16 v5, v5, v14, -v63
	v_fmac_f16_e32 v64, v61, v14
	v_fma_f16 v7, v7, v11, -v65
	v_fmac_f16_e32 v66, v30, v11
	;; [unrolled: 2-line block ×5, first 2 shown]
	v_add_f16_e32 v21, v1, v4
	v_sub_f16_e32 v22, v23, v29
	v_add_f16_e32 v24, v35, v23
	v_add_f16_e32 v23, v23, v29
	v_add_f16_e32 v31, v6, v5
	v_add_f16_e32 v37, v38, v64
	v_add_f16_e32 v40, v7, v17
	v_add_f16_e32 v65, v66, v68
	v_add_f16_e32 v20, v2, v1
	v_sub_f16_e32 v1, v1, v4
	v_sub_f16_e32 v61, v66, v68
	v_add_f16_e32 v63, v62, v66
	v_add_f16_e32 v66, v33, v18
	;; [unrolled: 1-line block ×3, first 2 shown]
	v_sub_f16_e32 v71, v72, v74
	v_add_f16_e32 v73, v34, v72
	v_add_f16_e32 v72, v72, v74
	v_fma_f16 v2, -0.5, v21, v2
	v_fmac_f16_e32 v35, -0.5, v23
	v_add_f16_e32 v30, v3, v6
	v_sub_f16_e32 v36, v38, v64
	v_add_f16_e32 v32, v39, v38
	v_sub_f16_e32 v6, v6, v5
	v_fmac_f16_e32 v3, -0.5, v31
	v_fmac_f16_e32 v39, -0.5, v37
	v_add_f16_e32 v38, v0, v7
	v_sub_f16_e32 v7, v7, v17
	v_fmac_f16_e32 v0, -0.5, v40
	v_fmac_f16_e32 v62, -0.5, v65
	v_sub_f16_e32 v18, v18, v19
	v_add_f16_e32 v4, v20, v4
	v_add_f16_e32 v20, v24, v29
	;; [unrolled: 1-line block ×3, first 2 shown]
	v_fmac_f16_e32 v33, -0.5, v67
	v_fmac_f16_e32 v34, -0.5, v72
	v_fmamk_f16 v19, v22, 0x3aee, v2
	v_fmac_f16_e32 v2, 0xbaee, v22
	v_fmamk_f16 v22, v1, 0xbaee, v35
	v_fmac_f16_e32 v35, 0x3aee, v1
	v_add_f16_e32 v5, v30, v5
	v_add_f16_e32 v21, v32, v64
	v_fmamk_f16 v1, v36, 0x3aee, v3
	v_fmamk_f16 v24, v6, 0xbaee, v39
	v_fmac_f16_e32 v3, 0xbaee, v36
	v_fmac_f16_e32 v39, 0x3aee, v6
	v_add_f16_e32 v17, v38, v17
	v_add_f16_e32 v23, v63, v68
	v_fmamk_f16 v29, v61, 0x3aee, v0
	v_fmamk_f16 v30, v7, 0xbaee, v62
	v_add_f16_e32 v32, v73, v74
	v_fmac_f16_e32 v0, 0xbaee, v61
	v_fmac_f16_e32 v62, 0x3aee, v7
	v_fmamk_f16 v6, v71, 0x3aee, v33
	v_fmac_f16_e32 v33, 0xbaee, v71
	v_fmamk_f16 v7, v18, 0xbaee, v34
	v_fmac_f16_e32 v34, 0x3aee, v18
	v_pack_b32_f16 v4, v4, v20
	v_pack_b32_f16 v18, v19, v22
	;; [unrolled: 1-line block ×9, first 2 shown]
	ds_write2_b32 v60, v4, v18 offset1:10
	ds_write_b32 v60, v2 offset:80
	ds_write2_b32 v59, v5, v1 offset1:10
	ds_write_b32 v59, v3 offset:80
	;; [unrolled: 2-line block ×3, first 2 shown]
	s_and_saveexec_b32 s0, vcc_lo
	s_cbranch_execz .LBB0_5
; %bb.4:
	v_mad_u16 v0, v56, 30, v57
	v_mov_b32_e32 v1, 2
	v_perm_b32 v2, v32, v31, 0x5040100
	v_perm_b32 v3, v7, v6, 0x5040100
	v_lshlrev_b32_sdwa v0, v1, v0 dst_sel:DWORD dst_unused:UNUSED_PAD src0_sel:DWORD src1_sel:WORD_0
	v_perm_b32 v1, v34, v33, 0x5040100
	ds_write2_b32 v0, v2, v3 offset1:10
	ds_write_b32 v0, v1 offset:80
.LBB0_5:
	s_or_b32 exec_lo, exec_lo, s0
	v_add_nc_u32_e32 v2, 0x500, v42
	v_add_nc_u32_e32 v3, 0x1000, v42
	;; [unrolled: 1-line block ×3, first 2 shown]
	s_waitcnt lgkmcnt(0)
	s_barrier
	buffer_gl0_inv
	ds_read2_b32 v[0:1], v42 offset1:162
	ds_read2_b32 v[29:30], v2 offset0:4 offset1:220
	ds_read2_b32 v[4:5], v3 offset0:56 offset1:218
	;; [unrolled: 1-line block ×3, first 2 shown]
	ds_read_b32 v36, v42 offset:5616
	s_and_saveexec_b32 s0, vcc_lo
	s_cbranch_execz .LBB0_7
; %bb.6:
	ds_read_b32 v31, v42 offset:1944
	ds_read_b32 v6, v42 offset:4104
	;; [unrolled: 1-line block ×3, first 2 shown]
	s_waitcnt lgkmcnt(2)
	v_lshrrev_b32_e32 v32, 16, v31
	s_waitcnt lgkmcnt(1)
	v_lshrrev_b32_e32 v7, 16, v6
	;; [unrolled: 2-line block ×3, first 2 shown]
.LBB0_7:
	s_or_b32 exec_lo, exec_lo, s0
	v_and_b32_e32 v17, 0xff, v50
	v_mov_b32_e32 v18, 0x8889
	v_mov_b32_e32 v73, 0x5a
	s_waitcnt lgkmcnt(3)
	v_lshrrev_b32_e32 v67, 16, v30
	s_waitcnt lgkmcnt(2)
	v_lshrrev_b32_e32 v68, 16, v4
	v_mul_lo_u16 v17, 0x89, v17
	v_mul_u32_u24_sdwa v19, v25, v18 dst_sel:DWORD dst_unused:UNUSED_PAD src0_sel:WORD_0 src1_sel:DWORD
	v_mul_u32_u24_sdwa v20, v27, v18 dst_sel:DWORD dst_unused:UNUSED_PAD src0_sel:WORD_0 src1_sel:DWORD
	;; [unrolled: 1-line block ×3, first 2 shown]
	v_mov_b32_e32 v65, 2
	v_lshrrev_b16 v37, 12, v17
	v_lshrrev_b32_e32 v38, 20, v19
	v_lshrrev_b32_e32 v39, 20, v20
	;; [unrolled: 1-line block ×3, first 2 shown]
	s_waitcnt lgkmcnt(1)
	v_lshrrev_b32_e32 v72, 16, v2
	v_mul_lo_u16 v17, v37, 30
	v_mul_lo_u16 v18, v38, 30
	;; [unrolled: 1-line block ×4, first 2 shown]
	v_mul_u32_u24_sdwa v37, v37, v73 dst_sel:DWORD dst_unused:UNUSED_PAD src0_sel:WORD_0 src1_sel:DWORD
	v_sub_nc_u16 v17, v50, v17
	v_sub_nc_u16 v61, v25, v18
	;; [unrolled: 1-line block ×4, first 2 shown]
	v_lshrrev_b32_e32 v74, 16, v5
	v_and_b32_e32 v64, 0xff, v17
	v_lshlrev_b16 v17, 3, v61
	v_lshlrev_b16 v18, 3, v62
	;; [unrolled: 1-line block ×3, first 2 shown]
	v_mad_u16 v38, 0x5a, v38, v61
	v_lshlrev_b32_e32 v20, 3, v64
	v_and_b32_e32 v17, 0xffff, v17
	v_and_b32_e32 v21, 0xffff, v18
	;; [unrolled: 1-line block ×3, first 2 shown]
	v_mad_u16 v39, 0x5a, v39, v62
	global_load_dwordx2 v[23:24], v20, s[2:3] offset:80
	v_add_co_u32 v17, s0, s2, v17
	v_add_co_ci_u32_e64 v18, null, s3, 0, s0
	v_add_co_u32 v19, s0, s2, v21
	v_mad_u16 v61, 0x5a, v40, v63
	global_load_dwordx2 v[21:22], v[17:18], off offset:80
	v_add_co_ci_u32_e64 v20, null, s3, 0, s0
	v_add_co_u32 v17, s0, s2, v35
	v_add_co_ci_u32_e64 v18, null, s3, 0, s0
	s_clause 0x1
	global_load_dwordx2 v[19:20], v[19:20], off offset:80
	global_load_dwordx2 v[17:18], v[17:18], off offset:80
	v_add_lshl_u32 v64, v37, v64, 2
	v_lshlrev_b32_sdwa v63, v65, v38 dst_sel:DWORD dst_unused:UNUSED_PAD src0_sel:DWORD src1_sel:WORD_0
	v_lshlrev_b32_sdwa v62, v65, v39 dst_sel:DWORD dst_unused:UNUSED_PAD src0_sel:DWORD src1_sel:WORD_0
	v_lshrrev_b32_e32 v75, 16, v3
	s_waitcnt lgkmcnt(0)
	v_lshrrev_b32_e32 v73, 16, v36
	v_lshrrev_b32_e32 v66, 16, v0
	;; [unrolled: 1-line block ×4, first 2 shown]
	s_waitcnt vmcnt(0)
	s_barrier
	buffer_gl0_inv
	v_mul_f16_sdwa v37, v67, v23 dst_sel:DWORD dst_unused:UNUSED_PAD src0_sel:DWORD src1_sel:WORD_1
	v_mul_f16_sdwa v38, v30, v23 dst_sel:DWORD dst_unused:UNUSED_PAD src0_sel:DWORD src1_sel:WORD_1
	;; [unrolled: 1-line block ×4, first 2 shown]
	v_fma_f16 v30, v30, v23, -v37
	v_fmac_f16_e32 v38, v67, v23
	v_fma_f16 v4, v4, v24, -v39
	v_fmac_f16_e32 v40, v68, v24
	v_mul_f16_sdwa v37, v72, v21 dst_sel:DWORD dst_unused:UNUSED_PAD src0_sel:DWORD src1_sel:WORD_1
	v_mul_f16_sdwa v39, v2, v21 dst_sel:DWORD dst_unused:UNUSED_PAD src0_sel:DWORD src1_sel:WORD_1
	;; [unrolled: 1-line block ×4, first 2 shown]
	v_fma_f16 v2, v2, v21, -v37
	v_fmac_f16_e32 v39, v72, v21
	v_mul_f16_sdwa v76, v75, v19 dst_sel:DWORD dst_unused:UNUSED_PAD src0_sel:DWORD src1_sel:WORD_1
	v_mul_f16_sdwa v83, v33, v18 dst_sel:DWORD dst_unused:UNUSED_PAD src0_sel:DWORD src1_sel:WORD_1
	;; [unrolled: 1-line block ×8, first 2 shown]
	v_fma_f16 v5, v5, v22, -v67
	v_fmac_f16_e32 v68, v74, v22
	v_fmac_f16_e32 v83, v34, v18
	v_add_f16_e32 v34, v30, v4
	v_sub_f16_e32 v37, v38, v40
	v_add_f16_e32 v67, v66, v38
	v_add_f16_e32 v38, v38, v40
	v_fma_f16 v3, v3, v19, -v76
	v_fmac_f16_e32 v77, v75, v19
	v_fma_f16 v36, v36, v20, -v78
	v_fmac_f16_e32 v79, v73, v20
	;; [unrolled: 2-line block ×3, first 2 shown]
	v_fma_f16 v7, v33, v18, -v82
	v_add_f16_e32 v33, v0, v30
	v_sub_f16_e32 v30, v30, v4
	v_fma_f16 v0, -0.5, v34, v0
	v_add_f16_e32 v40, v67, v40
	v_fmac_f16_e32 v66, -0.5, v38
	v_add_f16_e32 v34, v2, v5
	v_sub_f16_e32 v67, v39, v68
	v_add_f16_e32 v38, v71, v39
	v_add_f16_e32 v39, v39, v68
	;; [unrolled: 1-line block ×5, first 2 shown]
	v_sub_f16_e32 v80, v81, v83
	v_add_f16_e32 v82, v32, v81
	v_add_f16_e32 v81, v81, v83
	;; [unrolled: 1-line block ×4, first 2 shown]
	v_sub_f16_e32 v2, v2, v5
	v_add_f16_e32 v72, v29, v3
	v_sub_f16_e32 v74, v77, v79
	v_add_f16_e32 v75, v35, v77
	v_add_f16_e32 v77, v31, v6
	v_fmamk_f16 v84, v37, 0x3aee, v0
	v_fmamk_f16 v85, v30, 0xbaee, v66
	v_fmac_f16_e32 v1, -0.5, v34
	v_fmac_f16_e32 v71, -0.5, v39
	v_sub_f16_e32 v3, v3, v36
	v_fmac_f16_e32 v29, -0.5, v73
	v_fmac_f16_e32 v35, -0.5, v76
	v_sub_f16_e32 v6, v6, v7
	v_fmac_f16_e32 v0, 0xbaee, v37
	v_fmac_f16_e32 v66, 0x3aee, v30
	v_fmac_f16_e32 v31, -0.5, v78
	v_fmac_f16_e32 v32, -0.5, v81
	v_add_f16_e32 v5, v33, v5
	v_add_f16_e32 v86, v38, v68
	;; [unrolled: 1-line block ×4, first 2 shown]
	v_pack_b32_f16 v4, v4, v40
	v_fmamk_f16 v7, v67, 0x3aee, v1
	v_fmamk_f16 v36, v2, 0xbaee, v71
	v_fmac_f16_e32 v71, 0x3aee, v2
	v_pack_b32_f16 v2, v84, v85
	v_fmac_f16_e32 v1, 0xbaee, v67
	v_add_f16_e32 v33, v75, v79
	v_fmamk_f16 v37, v74, 0x3aee, v29
	v_fmamk_f16 v40, v3, 0xbaee, v35
	v_fmac_f16_e32 v29, 0xbaee, v74
	v_fmac_f16_e32 v35, 0x3aee, v3
	v_add_f16_e32 v38, v82, v83
	v_fmamk_f16 v39, v80, 0x3aee, v31
	v_fmac_f16_e32 v31, 0xbaee, v80
	v_fmamk_f16 v68, v6, 0xbaee, v32
	v_fmac_f16_e32 v32, 0x3aee, v6
	v_pack_b32_f16 v0, v0, v66
	v_pack_b32_f16 v3, v5, v86
	ds_write2_b32 v64, v4, v2 offset1:30
	v_pack_b32_f16 v2, v7, v36
	v_pack_b32_f16 v1, v1, v71
	;; [unrolled: 1-line block ×5, first 2 shown]
	ds_write_b32 v64, v0 offset:240
	ds_write2_b32 v63, v3, v2 offset1:30
	ds_write_b32 v63, v1 offset:240
	ds_write2_b32 v62, v5, v4 offset1:30
	ds_write_b32 v62, v6 offset:240
	s_and_saveexec_b32 s0, vcc_lo
	s_cbranch_execz .LBB0_9
; %bb.8:
	v_lshlrev_b32_sdwa v0, v65, v61 dst_sel:DWORD dst_unused:UNUSED_PAD src0_sel:DWORD src1_sel:WORD_0
	v_perm_b32 v1, v38, v34, 0x5040100
	v_perm_b32 v2, v68, v39, 0x5040100
	v_perm_b32 v3, v32, v31, 0x5040100
	ds_write2_b32 v0, v1, v2 offset1:30
	ds_write_b32 v0, v3 offset:240
.LBB0_9:
	s_or_b32 exec_lo, exec_lo, s0
	s_waitcnt lgkmcnt(0)
	s_barrier
	buffer_gl0_inv
	ds_read_b32 v36, v42
	ds_read_b32 v75, v42 offset:1080
	ds_read_b32 v74, v42 offset:2160
	;; [unrolled: 1-line block ×5, first 2 shown]
	v_cmp_gt_u16_e64 s0, 0x6c, v50
	s_and_saveexec_b32 s1, s0
	s_cbranch_execz .LBB0_11
; %bb.10:
	ds_read_b32 v30, v42 offset:648
	ds_read_b32 v37, v42 offset:1728
	;; [unrolled: 1-line block ×6, first 2 shown]
	s_waitcnt lgkmcnt(5)
	v_lshrrev_b32_e32 v33, 16, v30
	s_waitcnt lgkmcnt(4)
	v_lshrrev_b32_e32 v40, 16, v37
	;; [unrolled: 2-line block ×6, first 2 shown]
.LBB0_11:
	s_or_b32 exec_lo, exec_lo, s1
	v_add_nc_u32_e32 v0, 0xffffffa6, v50
	v_cmp_gt_u16_e64 s1, 0x5a, v50
	v_mov_b32_e32 v2, 0x2d83
	s_waitcnt lgkmcnt(2)
	v_lshrrev_b32_e32 v81, 16, v73
	s_waitcnt lgkmcnt(1)
	v_lshrrev_b32_e32 v82, 16, v72
	;; [unrolled: 2-line block ×3, first 2 shown]
	v_cndmask_b32_e64 v76, v0, v50, s1
	v_mul_u32_u24_sdwa v2, v25, v2 dst_sel:DWORD dst_unused:UNUSED_PAD src0_sel:WORD_0 src1_sel:DWORD
	v_lshrrev_b32_e32 v80, 16, v75
	v_lshrrev_b32_e32 v77, 16, v36
	v_mul_i32_i24_e32 v0, 20, v76
	v_mul_hi_i32_i24_e32 v1, 20, v76
	v_lshrrev_b32_e32 v78, 20, v2
	v_add_co_u32 v0, s1, s2, v0
	v_add_co_ci_u32_e64 v1, s1, s3, v1, s1
	s_clause 0x1
	global_load_dwordx4 v[4:7], v[0:1], off offset:320
	global_load_dword v67, v[0:1], off offset:336
	v_mul_lo_u16 v0, 0x5a, v78
	v_sub_nc_u16 v79, v25, v0
	v_mul_lo_u16 v0, v79, 20
	v_and_b32_e32 v0, 0xffff, v0
	v_add_co_u32 v65, s1, s2, v0
	v_add_co_ci_u32_e64 v66, null, s3, 0, s1
	s_clause 0x1
	global_load_dwordx4 v[0:3], v[65:66], off offset:320
	global_load_dword v66, v[65:66], off offset:336
	v_cmp_lt_u16_e64 s1, 0x59, v50
	s_waitcnt vmcnt(0)
	s_barrier
	buffer_gl0_inv
	v_cndmask_b32_e64 v65, 0, 0x21c, s1
	v_add_lshl_u32 v65, v76, v65, 2
	v_lshrrev_b32_e32 v76, 16, v74
	v_add_nc_u32_e32 v84, 0x200, v65
	v_add_nc_u32_e32 v85, 0x400, v65
	v_mul_f16_sdwa v88, v76, v5 dst_sel:DWORD dst_unused:UNUSED_PAD src0_sel:DWORD src1_sel:WORD_1
	v_mul_f16_sdwa v89, v74, v5 dst_sel:DWORD dst_unused:UNUSED_PAD src0_sel:DWORD src1_sel:WORD_1
	;; [unrolled: 1-line block ×10, first 2 shown]
	v_fma_f16 v74, v74, v5, -v88
	v_fmac_f16_e32 v89, v76, v5
	v_fma_f16 v73, v73, v6, -v90
	v_fma_f16 v72, v72, v7, -v92
	v_fmac_f16_e32 v93, v82, v7
	v_fma_f16 v71, v71, v67, -v94
	v_fma_f16 v75, v75, v4, -v86
	v_fmac_f16_e32 v87, v80, v4
	v_fmac_f16_e32 v91, v81, v6
	;; [unrolled: 1-line block ×3, first 2 shown]
	v_add_f16_e32 v80, v74, v72
	v_add_f16_e32 v83, v89, v93
	v_add_f16_e32 v88, v73, v71
	v_add_f16_e32 v76, v36, v74
	v_sub_f16_e32 v81, v89, v93
	v_add_f16_e32 v82, v77, v89
	v_sub_f16_e32 v74, v74, v72
	v_add_f16_e32 v86, v75, v73
	;; [unrolled: 2-line block ×3, first 2 shown]
	v_add_f16_e32 v91, v91, v95
	v_fmac_f16_e32 v36, -0.5, v80
	v_fmac_f16_e32 v77, -0.5, v83
	;; [unrolled: 1-line block ×3, first 2 shown]
	v_sub_f16_e32 v73, v73, v71
	v_add_f16_e32 v71, v86, v71
	v_add_f16_e32 v80, v90, v95
	v_fmac_f16_e32 v87, -0.5, v91
	v_mul_f16_sdwa v86, v35, v1 dst_sel:DWORD dst_unused:UNUSED_PAD src0_sel:DWORD src1_sel:WORD_1
	v_mul_f16_sdwa v88, v29, v1 dst_sel:DWORD dst_unused:UNUSED_PAD src0_sel:DWORD src1_sel:WORD_1
	;; [unrolled: 1-line block ×7, first 2 shown]
	v_fmamk_f16 v96, v81, 0x3aee, v36
	v_fmac_f16_e32 v36, 0xbaee, v81
	v_fmamk_f16 v81, v74, 0xbaee, v77
	v_fmac_f16_e32 v77, 0x3aee, v74
	v_fmamk_f16 v74, v89, 0x3aee, v75
	v_add_f16_e32 v72, v76, v72
	v_add_f16_e32 v76, v82, v93
	v_mul_f16_sdwa v82, v40, v0 dst_sel:DWORD dst_unused:UNUSED_PAD src0_sel:DWORD src1_sel:WORD_1
	v_mul_f16_sdwa v83, v37, v0 dst_sel:DWORD dst_unused:UNUSED_PAD src0_sel:DWORD src1_sel:WORD_1
	;; [unrolled: 1-line block ×3, first 2 shown]
	v_fmac_f16_e32 v75, 0xbaee, v89
	v_fmamk_f16 v89, v73, 0xbaee, v87
	v_fmac_f16_e32 v87, 0x3aee, v73
	v_fma_f16 v29, v29, v1, -v86
	v_fmac_f16_e32 v88, v35, v1
	v_fma_f16 v34, v34, v2, -v90
	;; [unrolled: 2-line block ×3, first 2 shown]
	v_fma_f16 v31, v31, v66, -v94
	v_fmac_f16_e32 v95, v32, v66
	v_mul_f16_e32 v38, 0xbaee, v74
	v_add_f16_e32 v73, v72, v71
	v_add_f16_e32 v97, v76, v80
	v_sub_f16_e32 v71, v72, v71
	v_sub_f16_e32 v72, v76, v80
	v_fma_f16 v76, v37, v0, -v82
	v_fmac_f16_e32 v83, v40, v0
	v_fmac_f16_e32 v93, v68, v3
	v_mul_f16_e32 v32, 0x3aee, v89
	v_mul_f16_e32 v37, -0.5, v75
	v_mul_f16_e32 v39, -0.5, v87
	v_fmac_f16_e32 v38, 0.5, v89
	v_add_f16_e32 v68, v29, v35
	v_add_f16_e32 v86, v34, v31
	;; [unrolled: 1-line block ×3, first 2 shown]
	v_pack_b32_f16 v80, v73, v97
	v_pack_b32_f16 v82, v71, v72
	v_fmac_f16_e32 v32, 0.5, v74
	v_fmac_f16_e32 v37, 0x3aee, v87
	v_fmac_f16_e32 v39, 0xbaee, v75
	v_add_f16_e32 v40, v30, v29
	v_sub_f16_e32 v71, v88, v93
	v_add_f16_e32 v72, v33, v88
	v_add_f16_e32 v73, v88, v93
	;; [unrolled: 1-line block ×3, first 2 shown]
	v_sub_f16_e32 v87, v91, v95
	v_add_f16_e32 v88, v83, v91
	v_sub_f16_e32 v90, v34, v31
	v_fmac_f16_e32 v30, -0.5, v68
	v_fmac_f16_e32 v76, -0.5, v86
	;; [unrolled: 1-line block ×3, first 2 shown]
	v_add_f16_e32 v91, v96, v32
	v_sub_f16_e32 v96, v96, v32
	v_fmamk_f16 v32, v71, 0x3aee, v30
	v_fmac_f16_e32 v30, 0xbaee, v71
	v_fmamk_f16 v68, v87, 0x3aee, v76
	v_fmac_f16_e32 v76, 0xbaee, v87
	;; [unrolled: 2-line block ×3, first 2 shown]
	v_sub_f16_e32 v74, v29, v35
	v_add_f16_e32 v92, v36, v37
	v_add_f16_e32 v94, v81, v38
	;; [unrolled: 1-line block ×3, first 2 shown]
	v_sub_f16_e32 v98, v36, v37
	v_sub_f16_e32 v81, v81, v38
	;; [unrolled: 1-line block ×3, first 2 shown]
	v_add_f16_e32 v29, v40, v35
	v_fmac_f16_e32 v33, -0.5, v73
	v_mul_f16_e32 v37, 0x3aee, v71
	v_mul_f16_e32 v38, -0.5, v76
	v_mul_f16_e32 v39, 0xbaee, v68
	v_mul_f16_e32 v40, -0.5, v83
	v_add_f16_e32 v34, v72, v93
	v_add_f16_e32 v31, v75, v31
	;; [unrolled: 1-line block ×3, first 2 shown]
	v_fmamk_f16 v36, v74, 0xbaee, v33
	v_fmac_f16_e32 v33, 0x3aee, v74
	v_fmac_f16_e32 v37, 0.5, v68
	v_fmac_f16_e32 v38, 0x3aee, v83
	v_fmac_f16_e32 v39, 0.5, v71
	v_fmac_f16_e32 v40, 0xbaee, v76
	v_sub_f16_e32 v73, v29, v31
	v_sub_f16_e32 v74, v34, v35
	v_pack_b32_f16 v75, v91, v94
	v_pack_b32_f16 v83, v98, v77
	v_sub_f16_e32 v71, v32, v37
	v_sub_f16_e32 v72, v30, v38
	;; [unrolled: 1-line block ×4, first 2 shown]
	v_mad_u16 v68, 0x21c, v78, v79
	v_pack_b32_f16 v86, v92, v97
	v_pack_b32_f16 v81, v96, v81
	ds_write2_b32 v65, v80, v75 offset1:90
	ds_write2_b32 v84, v86, v82 offset0:52 offset1:142
	ds_write2_b32 v85, v81, v83 offset0:104 offset1:194
	s_and_saveexec_b32 s1, s0
	s_cbranch_execz .LBB0_13
; %bb.12:
	v_add_f16_e32 v34, v34, v35
	v_mov_b32_e32 v35, 2
	v_add_f16_e32 v36, v36, v39
	v_add_f16_e32 v29, v29, v31
	v_add_f16_e32 v31, v32, v37
	v_add_f16_e32 v33, v33, v40
	v_add_f16_e32 v30, v30, v38
	v_lshlrev_b32_sdwa v32, v35, v68 dst_sel:DWORD dst_unused:UNUSED_PAD src0_sel:DWORD src1_sel:WORD_0
	v_pack_b32_f16 v29, v29, v34
	v_pack_b32_f16 v31, v31, v36
	v_perm_b32 v35, v76, v71, 0x5040100
	v_pack_b32_f16 v30, v30, v33
	v_perm_b32 v33, v74, v73, 0x5040100
	v_add_nc_u32_e32 v34, 0x200, v32
	v_perm_b32 v36, v77, v72, 0x5040100
	v_add_nc_u32_e32 v37, 0x400, v32
	ds_write2_b32 v32, v29, v31 offset1:90
	ds_write2_b32 v34, v30, v33 offset0:52 offset1:142
	ds_write2_b32 v37, v35, v36 offset0:104 offset1:194
.LBB0_13:
	s_or_b32 exec_lo, exec_lo, s1
	v_add_nc_u32_e32 v29, 0x500, v42
	v_add_nc_u32_e32 v30, 0x1000, v42
	;; [unrolled: 1-line block ×3, first 2 shown]
	s_waitcnt lgkmcnt(0)
	s_barrier
	buffer_gl0_inv
	ds_read2_b32 v[35:36], v42 offset1:162
	ds_read2_b32 v[33:34], v29 offset0:4 offset1:220
	ds_read2_b32 v[39:40], v30 offset0:56 offset1:218
	;; [unrolled: 1-line block ×3, first 2 shown]
	ds_read_b32 v78, v42 offset:5616
	s_and_saveexec_b32 s1, vcc_lo
	s_cbranch_execz .LBB0_15
; %bb.14:
	ds_read_b32 v73, v42 offset:1944
	ds_read_b32 v71, v42 offset:4104
	;; [unrolled: 1-line block ×3, first 2 shown]
	s_waitcnt lgkmcnt(2)
	v_lshrrev_b32_e32 v74, 16, v73
	s_waitcnt lgkmcnt(1)
	v_lshrrev_b32_e32 v76, 16, v71
	;; [unrolled: 2-line block ×3, first 2 shown]
.LBB0_15:
	s_or_b32 exec_lo, exec_lo, s1
	v_lshlrev_b32_e32 v29, 3, v50
	v_lshlrev_b64 v[25:26], 3, v[25:26]
	v_lshlrev_b64 v[27:28], 3, v[27:28]
	s_waitcnt lgkmcnt(1)
	v_lshrrev_b32_e32 v81, 16, v37
	v_lshrrev_b32_e32 v82, 16, v40
	v_add_co_u32 v29, s1, s2, v29
	v_add_co_ci_u32_e64 v30, null, s3, 0, s1
	v_lshrrev_b32_e32 v84, 16, v38
	v_add_co_u32 v29, s1, 0x800, v29
	v_add_co_ci_u32_e64 v30, s1, 0, v30, s1
	v_add_co_u32 v25, s1, s2, v25
	v_add_co_ci_u32_e64 v26, s1, s3, v26, s1
	global_load_dwordx2 v[29:30], v[29:30], off offset:72
	v_add_co_u32 v25, s1, 0x800, v25
	v_add_co_ci_u32_e64 v26, s1, 0, v26, s1
	v_add_co_u32 v27, s1, s2, v27
	v_add_co_ci_u32_e64 v28, s1, s3, v28, s1
	v_add_co_u32 v79, s1, 0xffffffca, v50
	v_add_co_ci_u32_e64 v80, null, 0, -1, s1
	v_add_co_u32 v27, s1, 0x800, v27
	v_add_co_ci_u32_e64 v28, s1, 0, v28, s1
	global_load_dwordx2 v[31:32], v[25:26], off offset:72
	s_waitcnt lgkmcnt(0)
	v_lshrrev_b32_e32 v85, 16, v78
	v_lshrrev_b32_e32 v83, 16, v33
	global_load_dwordx2 v[27:28], v[27:28], off offset:72
	v_cndmask_b32_e32 v26, v80, v70, vcc_lo
	v_cndmask_b32_e32 v25, v79, v69, vcc_lo
	v_lshrrev_b32_e32 v70, 16, v34
	v_lshrrev_b32_e32 v79, 16, v39
	;; [unrolled: 1-line block ×4, first 2 shown]
	v_lshlrev_b64 v[25:26], 3, v[25:26]
	v_add_co_u32 v25, s1, s2, v25
	v_add_co_ci_u32_e64 v26, s1, s3, v26, s1
	v_add_co_u32 v25, s1, 0x800, v25
	v_add_co_ci_u32_e64 v26, s1, 0, v26, s1
	global_load_dwordx2 v[25:26], v[25:26], off offset:72
	s_waitcnt vmcnt(3)
	v_mul_f16_sdwa v86, v70, v29 dst_sel:DWORD dst_unused:UNUSED_PAD src0_sel:DWORD src1_sel:WORD_1
	v_mul_f16_sdwa v87, v34, v29 dst_sel:DWORD dst_unused:UNUSED_PAD src0_sel:DWORD src1_sel:WORD_1
	;; [unrolled: 1-line block ×4, first 2 shown]
	v_fma_f16 v34, v34, v29, -v86
	v_fmac_f16_e32 v87, v70, v29
	v_fma_f16 v39, v39, v30, -v88
	v_fmac_f16_e32 v89, v79, v30
	v_add_f16_e32 v79, v35, v34
	v_sub_f16_e32 v86, v34, v39
	s_waitcnt vmcnt(2)
	v_mul_f16_sdwa v91, v37, v31 dst_sel:DWORD dst_unused:UNUSED_PAD src0_sel:DWORD src1_sel:WORD_1
	v_mul_f16_sdwa v93, v40, v32 dst_sel:DWORD dst_unused:UNUSED_PAD src0_sel:DWORD src1_sel:WORD_1
	;; [unrolled: 1-line block ×4, first 2 shown]
	s_waitcnt vmcnt(1)
	v_mul_f16_sdwa v94, v84, v27 dst_sel:DWORD dst_unused:UNUSED_PAD src0_sel:DWORD src1_sel:WORD_1
	v_mul_f16_sdwa v95, v38, v27 dst_sel:DWORD dst_unused:UNUSED_PAD src0_sel:DWORD src1_sel:WORD_1
	;; [unrolled: 1-line block ×4, first 2 shown]
	v_fmac_f16_e32 v91, v81, v31
	v_fmac_f16_e32 v93, v82, v32
	v_fma_f16 v70, v37, v31, -v90
	v_fma_f16 v40, v40, v32, -v92
	;; [unrolled: 1-line block ×3, first 2 shown]
	v_fmac_f16_e32 v95, v84, v27
	v_fma_f16 v78, v78, v28, -v96
	v_fmac_f16_e32 v97, v85, v28
	v_add_f16_e32 v81, v34, v39
	v_sub_f16_e32 v82, v87, v89
	v_add_f16_e32 v84, v69, v87
	v_add_f16_e32 v85, v87, v89
	v_sub_f16_e32 v94, v91, v93
	v_add_f16_e32 v96, v80, v91
	v_add_f16_e32 v91, v91, v93
	;; [unrolled: 1-line block ×4, first 2 shown]
	v_sub_f16_e32 v70, v70, v40
	v_add_f16_e32 v98, v33, v38
	v_add_f16_e32 v99, v38, v78
	s_waitcnt vmcnt(0)
	v_mul_f16_sdwa v87, v76, v25 dst_sel:DWORD dst_unused:UNUSED_PAD src0_sel:DWORD src1_sel:WORD_1
	v_mul_f16_sdwa v37, v71, v25 dst_sel:DWORD dst_unused:UNUSED_PAD src0_sel:DWORD src1_sel:WORD_1
	;; [unrolled: 1-line block ×4, first 2 shown]
	v_add_f16_e32 v101, v83, v95
	v_sub_f16_e32 v102, v38, v78
	v_add_f16_e32 v39, v79, v39
	v_fma_f16 v79, -0.5, v81, v35
	v_fmac_f16_e32 v69, -0.5, v85
	v_fma_f16 v35, v71, v25, -v87
	v_fmac_f16_e32 v37, v76, v25
	v_fma_f16 v38, v72, v26, -v88
	v_fmac_f16_e32 v34, v77, v26
	v_fmac_f16_e32 v80, -0.5, v91
	v_sub_f16_e32 v100, v95, v97
	v_add_f16_e32 v95, v95, v97
	v_add_f16_e32 v40, v90, v40
	v_add_f16_e32 v71, v96, v93
	v_add_f16_e32 v72, v98, v78
	v_add_f16_e32 v76, v101, v97
	v_fmamk_f16 v77, v82, 0x3aee, v79
	v_fmac_f16_e32 v79, 0xbaee, v82
	v_fmamk_f16 v78, v86, 0xbaee, v69
	v_fmac_f16_e32 v69, 0x3aee, v86
	;; [unrolled: 2-line block ×3, first 2 shown]
	v_add_f16_e32 v70, v35, v38
	v_add_f16_e32 v87, v37, v34
	;; [unrolled: 1-line block ×3, first 2 shown]
	v_fmac_f16_e32 v36, -0.5, v92
	v_fmac_f16_e32 v33, -0.5, v99
	;; [unrolled: 1-line block ×3, first 2 shown]
	v_sub_f16_e32 v86, v37, v34
	v_sub_f16_e32 v88, v35, v38
	v_pack_b32_f16 v40, v40, v71
	v_pack_b32_f16 v76, v72, v76
	;; [unrolled: 1-line block ×4, first 2 shown]
	v_fma_f16 v69, -0.5, v70, v73
	v_fma_f16 v70, -0.5, v87, v74
	v_pack_b32_f16 v39, v39, v81
	v_fmamk_f16 v81, v94, 0x3aee, v36
	v_fmac_f16_e32 v36, 0xbaee, v94
	v_fmamk_f16 v84, v100, 0x3aee, v33
	v_fmamk_f16 v85, v102, 0xbaee, v83
	v_fmac_f16_e32 v33, 0xbaee, v100
	v_fmac_f16_e32 v83, 0x3aee, v102
	ds_write_b32 v42, v71 offset:2160
	ds_write_b32 v42, v72 offset:4320
	v_fmamk_f16 v71, v86, 0x3aee, v69
	v_fmac_f16_e32 v69, 0xbaee, v86
	v_fmamk_f16 v72, v88, 0xbaee, v70
	v_fmac_f16_e32 v70, 0x3aee, v88
	v_pack_b32_f16 v36, v36, v80
	v_pack_b32_f16 v77, v81, v82
	;; [unrolled: 1-line block ×4, first 2 shown]
	ds_write2_b32 v42, v39, v40 offset1:162
	ds_write_b32 v42, v36 offset:4968
	ds_write_b32 v42, v76 offset:1296
	ds_write2_b32 v75, v77, v78 offset0:62 offset1:224
	ds_write_b32 v42, v33 offset:5616
	s_and_saveexec_b32 s1, vcc_lo
	s_cbranch_execz .LBB0_17
; %bb.16:
	v_add_f16_e32 v33, v74, v37
	v_add_f16_e32 v35, v73, v35
	;; [unrolled: 1-line block ×4, first 2 shown]
	v_perm_b32 v35, v72, v71, 0x5040100
	v_pack_b32_f16 v33, v34, v33
	v_perm_b32 v34, v70, v69, 0x5040100
	ds_write_b32 v42, v35 offset:4104
	ds_write_b32 v42, v33 offset:1944
	;; [unrolled: 1-line block ×3, first 2 shown]
.LBB0_17:
	s_or_b32 exec_lo, exec_lo, s1
	v_add_co_u32 v33, s1, 0x1800, v54
	v_add_co_ci_u32_e64 v34, s1, 0, v55, s1
	v_add_co_u32 v35, s1, 0x1950, v54
	v_add_co_ci_u32_e64 v36, s1, 0, v55, s1
	s_waitcnt lgkmcnt(0)
	s_barrier
	buffer_gl0_inv
	s_clause 0x1
	global_load_dword v39, v[33:34], off offset:336
	global_load_dword v40, v[35:36], off offset:648
	v_add_co_u32 v33, s1, 0x2000, v54
	v_add_co_ci_u32_e64 v34, s1, 0, v55, s1
	v_add_co_u32 v37, s1, 0x2800, v54
	v_add_co_ci_u32_e64 v38, s1, 0, v55, s1
	s_clause 0x5
	global_load_dword v73, v[35:36], off offset:1296
	global_load_dword v74, v[33:34], off offset:880
	;; [unrolled: 1-line block ×6, first 2 shown]
	v_add_co_u32 v33, s1, 0x3000, v54
	v_add_co_ci_u32_e64 v34, s1, 0, v55, s1
	s_clause 0x1
	global_load_dword v54, v[37:38], off offset:1424
	global_load_dword v55, v[33:34], off offset:24
	ds_read2_b32 v[33:34], v42 offset1:162
	v_add_nc_u32_e32 v81, 0xe00, v42
	v_add_nc_u32_e32 v82, 0x1400, v42
	s_waitcnt lgkmcnt(0)
	v_lshrrev_b32_e32 v35, 16, v33
	v_lshrrev_b32_e32 v36, 16, v34
	s_waitcnt vmcnt(9)
	v_mul_f16_sdwa v37, v35, v39 dst_sel:DWORD dst_unused:UNUSED_PAD src0_sel:DWORD src1_sel:WORD_1
	v_mul_f16_sdwa v38, v33, v39 dst_sel:DWORD dst_unused:UNUSED_PAD src0_sel:DWORD src1_sel:WORD_1
	s_waitcnt vmcnt(8)
	v_mul_f16_sdwa v79, v36, v40 dst_sel:DWORD dst_unused:UNUSED_PAD src0_sel:DWORD src1_sel:WORD_1
	v_mul_f16_sdwa v80, v34, v40 dst_sel:DWORD dst_unused:UNUSED_PAD src0_sel:DWORD src1_sel:WORD_1
	v_fma_f16 v33, v33, v39, -v37
	v_fmac_f16_e32 v38, v35, v39
	v_fma_f16 v34, v34, v40, -v79
	v_fmac_f16_e32 v80, v36, v40
	v_add_nc_u32_e32 v79, 0x400, v42
	v_pack_b32_f16 v33, v33, v38
	v_pack_b32_f16 v34, v34, v80
	v_add_nc_u32_e32 v80, 0xa00, v42
	ds_write2_b32 v42, v33, v34 offset1:162
	ds_read2_b32 v[33:34], v79 offset0:68 offset1:230
	ds_read2_b32 v[35:36], v80 offset0:8 offset1:170
	;; [unrolled: 1-line block ×4, first 2 shown]
	s_waitcnt lgkmcnt(3)
	v_lshrrev_b32_e32 v83, 16, v33
	s_waitcnt vmcnt(7)
	v_mul_f16_sdwa v84, v33, v73 dst_sel:DWORD dst_unused:UNUSED_PAD src0_sel:DWORD src1_sel:WORD_1
	v_lshrrev_b32_e32 v85, 16, v34
	s_waitcnt vmcnt(2)
	v_mul_f16_sdwa v86, v34, v78 dst_sel:DWORD dst_unused:UNUSED_PAD src0_sel:DWORD src1_sel:WORD_1
	s_waitcnt lgkmcnt(2)
	v_lshrrev_b32_e32 v87, 16, v35
	v_mul_f16_sdwa v88, v35, v74 dst_sel:DWORD dst_unused:UNUSED_PAD src0_sel:DWORD src1_sel:WORD_1
	v_lshrrev_b32_e32 v89, 16, v36
	v_mul_f16_sdwa v90, v36, v75 dst_sel:DWORD dst_unused:UNUSED_PAD src0_sel:DWORD src1_sel:WORD_1
	s_waitcnt lgkmcnt(1)
	v_lshrrev_b32_e32 v91, 16, v37
	v_mul_f16_sdwa v92, v37, v76 dst_sel:DWORD dst_unused:UNUSED_PAD src0_sel:DWORD src1_sel:WORD_1
	v_lshrrev_b32_e32 v93, 16, v38
	v_mul_f16_sdwa v94, v38, v77 dst_sel:DWORD dst_unused:UNUSED_PAD src0_sel:DWORD src1_sel:WORD_1
	s_waitcnt lgkmcnt(0)
	v_lshrrev_b32_e32 v95, 16, v39
	s_waitcnt vmcnt(1)
	v_mul_f16_sdwa v96, v39, v54 dst_sel:DWORD dst_unused:UNUSED_PAD src0_sel:DWORD src1_sel:WORD_1
	v_lshrrev_b32_e32 v97, 16, v40
	v_mul_f16_sdwa v99, v83, v73 dst_sel:DWORD dst_unused:UNUSED_PAD src0_sel:DWORD src1_sel:WORD_1
	v_fmac_f16_e32 v84, v83, v73
	v_mul_f16_sdwa v83, v85, v78 dst_sel:DWORD dst_unused:UNUSED_PAD src0_sel:DWORD src1_sel:WORD_1
	v_fmac_f16_e32 v86, v85, v78
	;; [unrolled: 2-line block ×5, first 2 shown]
	v_mul_f16_sdwa v91, v93, v77 dst_sel:DWORD dst_unused:UNUSED_PAD src0_sel:DWORD src1_sel:WORD_1
	s_waitcnt vmcnt(0)
	v_mul_f16_sdwa v98, v40, v55 dst_sel:DWORD dst_unused:UNUSED_PAD src0_sel:DWORD src1_sel:WORD_1
	v_fmac_f16_e32 v94, v93, v77
	v_mul_f16_sdwa v93, v95, v54 dst_sel:DWORD dst_unused:UNUSED_PAD src0_sel:DWORD src1_sel:WORD_1
	v_fmac_f16_e32 v96, v95, v54
	v_mul_f16_sdwa v95, v97, v55 dst_sel:DWORD dst_unused:UNUSED_PAD src0_sel:DWORD src1_sel:WORD_1
	v_fma_f16 v33, v33, v73, -v99
	v_fma_f16 v34, v34, v78, -v83
	;; [unrolled: 1-line block ×6, first 2 shown]
	v_fmac_f16_e32 v98, v97, v55
	v_fma_f16 v39, v39, v54, -v93
	v_fma_f16 v40, v40, v55, -v95
	v_pack_b32_f16 v33, v33, v84
	v_pack_b32_f16 v34, v34, v86
	;; [unrolled: 1-line block ×8, first 2 shown]
	ds_write2_b32 v79, v33, v34 offset0:68 offset1:230
	ds_write2_b32 v80, v35, v36 offset0:8 offset1:170
	;; [unrolled: 1-line block ×4, first 2 shown]
	s_waitcnt lgkmcnt(0)
	s_barrier
	buffer_gl0_inv
	ds_read2_b32 v[33:34], v79 offset0:68 offset1:230
	ds_read2_b32 v[35:36], v80 offset0:8 offset1:170
	;; [unrolled: 1-line block ×4, first 2 shown]
	ds_read2_b32 v[54:55], v42 offset1:162
	v_add_nc_u32_e32 v75, 0x500, v42
	v_add_nc_u32_e32 v76, 0x1000, v42
	s_waitcnt lgkmcnt(0)
	s_barrier
	buffer_gl0_inv
	v_sub_f16_e32 v79, v33, v35
	v_sub_f16_e32 v83, v35, v33
	;; [unrolled: 1-line block ×4, first 2 shown]
	v_sub_f16_sdwa v89, v33, v35 dst_sel:DWORD dst_unused:UNUSED_PAD src0_sel:WORD_1 src1_sel:WORD_1
	v_sub_f16_sdwa v90, v39, v37 dst_sel:DWORD dst_unused:UNUSED_PAD src0_sel:WORD_1 src1_sel:WORD_1
	v_add_f16_e32 v93, v36, v38
	v_pk_add_f16 v101, v55, v34
	v_add_f16_sdwa v102, v36, v38 dst_sel:DWORD dst_unused:UNUSED_PAD src0_sel:WORD_1 src1_sel:WORD_1
	v_lshrrev_b32_e32 v103, 16, v55
	v_add_f16_sdwa v108, v34, v40 dst_sel:DWORD dst_unused:UNUSED_PAD src0_sel:WORD_1 src1_sel:WORD_1
	v_add_f16_e32 v73, v35, v37
	v_add_f16_e32 v81, v33, v39
	v_pk_add_f16 v84, v54, v33
	v_add_f16_sdwa v85, v35, v37 dst_sel:DWORD dst_unused:UNUSED_PAD src0_sel:WORD_1 src1_sel:WORD_1
	v_lshrrev_b32_e32 v86, 16, v54
	v_add_f16_sdwa v91, v33, v39 dst_sel:DWORD dst_unused:UNUSED_PAD src0_sel:WORD_1 src1_sel:WORD_1
	v_sub_f16_sdwa v94, v34, v40 dst_sel:DWORD dst_unused:UNUSED_PAD src0_sel:WORD_1 src1_sel:WORD_1
	v_sub_f16_sdwa v95, v36, v38 dst_sel:DWORD dst_unused:UNUSED_PAD src0_sel:WORD_1 src1_sel:WORD_1
	v_sub_f16_e32 v96, v40, v38
	v_sub_f16_e32 v97, v34, v36
	v_add_f16_e32 v98, v34, v40
	v_sub_f16_e32 v100, v36, v34
	v_sub_f16_e32 v104, v34, v40
	v_sub_f16_e32 v105, v36, v38
	v_sub_f16_sdwa v106, v34, v36 dst_sel:DWORD dst_unused:UNUSED_PAD src0_sel:WORD_1 src1_sel:WORD_1
	v_sub_f16_sdwa v34, v36, v34 dst_sel:DWORD dst_unused:UNUSED_PAD src0_sel:WORD_1 src1_sel:WORD_1
	v_add_f16_e32 v78, v79, v78
	v_add_f16_e32 v79, v83, v82
	;; [unrolled: 1-line block ×3, first 2 shown]
	v_fma_f16 v83, -0.5, v93, v55
	v_pk_add_f16 v36, v101, v36
	v_fma_f16 v89, -0.5, v102, v103
	v_fmac_f16_e32 v103, -0.5, v108
	v_sub_f16_sdwa v74, v33, v39 dst_sel:DWORD dst_unused:UNUSED_PAD src0_sel:WORD_1 src1_sel:WORD_1
	v_sub_f16_sdwa v77, v35, v37 dst_sel:DWORD dst_unused:UNUSED_PAD src0_sel:WORD_1 src1_sel:WORD_1
	v_sub_f16_e32 v87, v33, v39
	v_sub_f16_e32 v88, v35, v37
	v_sub_f16_sdwa v33, v35, v33 dst_sel:DWORD dst_unused:UNUSED_PAD src0_sel:WORD_1 src1_sel:WORD_1
	v_sub_f16_e32 v99, v38, v40
	v_sub_f16_sdwa v107, v40, v38 dst_sel:DWORD dst_unused:UNUSED_PAD src0_sel:WORD_1 src1_sel:WORD_1
	v_sub_f16_sdwa v109, v38, v40 dst_sel:DWORD dst_unused:UNUSED_PAD src0_sel:WORD_1 src1_sel:WORD_1
	v_fma_f16 v73, -0.5, v73, v54
	v_fma_f16 v54, -0.5, v81, v54
	v_pk_add_f16 v35, v84, v35
	v_fma_f16 v81, -0.5, v85, v86
	v_fmac_f16_e32 v86, -0.5, v91
	v_add_f16_e32 v84, v97, v96
	v_fma_f16 v55, -0.5, v98, v55
	v_fmamk_f16 v96, v94, 0xbb9c, v83
	v_pk_add_f16 v36, v36, v38
	v_fmamk_f16 v38, v104, 0x3b9c, v89
	v_fmamk_f16 v98, v105, 0xbb9c, v103
	v_fmac_f16_e32 v103, 0x3b9c, v105
	v_sub_f16_sdwa v92, v37, v39 dst_sel:DWORD dst_unused:UNUSED_PAD src0_sel:WORD_1 src1_sel:WORD_1
	v_fmac_f16_e32 v89, 0xbb9c, v104
	v_add_f16_e32 v90, v106, v107
	v_add_f16_e32 v34, v34, v109
	v_fmamk_f16 v91, v74, 0xbb9c, v73
	v_fmac_f16_e32 v73, 0x3b9c, v74
	v_pk_add_f16 v35, v35, v37
	v_fmamk_f16 v93, v88, 0xbb9c, v86
	v_fmac_f16_e32 v86, 0x3b9c, v88
	v_fmamk_f16 v97, v95, 0x3b9c, v55
	v_fmac_f16_e32 v55, 0xbb9c, v95
	v_fmac_f16_e32 v96, 0xb8b4, v95
	;; [unrolled: 1-line block ×5, first 2 shown]
	v_add_f16_e32 v33, v33, v92
	v_fmamk_f16 v92, v77, 0x3b9c, v54
	v_fmac_f16_e32 v54, 0xbb9c, v77
	v_fmac_f16_e32 v83, 0x3b9c, v94
	;; [unrolled: 1-line block ×3, first 2 shown]
	v_add_f16_e32 v85, v100, v99
	v_fmamk_f16 v37, v87, 0x3b9c, v81
	v_fmac_f16_e32 v91, 0xb8b4, v77
	v_fmac_f16_e32 v73, 0x38b4, v77
	v_pk_add_f16 v35, v35, v39
	v_fmac_f16_e32 v93, 0x38b4, v87
	v_fmac_f16_e32 v86, 0xb8b4, v87
	;; [unrolled: 1-line block ×4, first 2 shown]
	v_pk_add_f16 v36, v36, v40
	v_fmac_f16_e32 v96, 0x34f2, v84
	v_fmac_f16_e32 v38, 0x34f2, v90
	;; [unrolled: 1-line block ×16, first 2 shown]
	v_pk_add_f16 v33, v35, v36
	v_pk_add_f16 v36, v35, v36 neg_lo:[0,1] neg_hi:[0,1]
	v_mul_f16_e32 v34, 0xb8b4, v38
	v_mul_f16_e32 v35, 0xbb9c, v98
	v_mul_f16_e32 v39, 0xbb9c, v103
	v_mul_f16_e32 v74, 0x38b4, v96
	v_mul_f16_e32 v77, 0x34f2, v98
	v_mul_f16_e32 v78, 0xb4f2, v103
	v_fmac_f16_e32 v81, 0xb8b4, v88
	v_fmac_f16_e32 v92, 0x34f2, v79
	;; [unrolled: 1-line block ×4, first 2 shown]
	v_mul_f16_e32 v40, 0xb8b4, v89
	v_mul_f16_e32 v79, 0xba79, v89
	v_fmac_f16_e32 v37, 0x34f2, v82
	v_fmac_f16_e32 v34, 0x3a79, v96
	;; [unrolled: 1-line block ×10, first 2 shown]
	v_add_f16_e32 v82, v91, v34
	v_add_f16_e32 v83, v92, v35
	;; [unrolled: 1-line block ×8, first 2 shown]
	v_sub_f16_e32 v90, v91, v34
	v_sub_f16_e32 v35, v92, v35
	;; [unrolled: 1-line block ×8, first 2 shown]
	v_pack_b32_f16 v38, v38, v88
	v_pack_b32_f16 v37, v83, v87
	;; [unrolled: 1-line block ×8, first 2 shown]
	ds_write2_b64 v53, v[33:34], v[37:38] offset1:1
	ds_write2_b64 v53, v[35:36], v[39:40] offset0:2 offset1:3
	ds_write_b64 v53, v[73:74] offset:32
	s_waitcnt lgkmcnt(0)
	s_barrier
	buffer_gl0_inv
	ds_read2_b32 v[35:36], v42 offset1:162
	ds_read2_b32 v[33:34], v75 offset0:4 offset1:220
	ds_read2_b32 v[39:40], v76 offset0:56 offset1:218
	;; [unrolled: 1-line block ×3, first 2 shown]
	ds_read_b32 v53, v42 offset:5616
	s_and_saveexec_b32 s1, vcc_lo
	s_cbranch_execz .LBB0_19
; %bb.18:
	ds_read_b32 v54, v42 offset:1944
	ds_read_b32 v71, v42 offset:4104
	;; [unrolled: 1-line block ×3, first 2 shown]
	s_waitcnt lgkmcnt(2)
	v_lshrrev_b32_e32 v55, 16, v54
	s_waitcnt lgkmcnt(1)
	v_lshrrev_b32_e32 v72, 16, v71
	;; [unrolled: 2-line block ×3, first 2 shown]
.LBB0_19:
	s_or_b32 exec_lo, exec_lo, s1
	s_waitcnt lgkmcnt(3)
	v_lshrrev_b32_e32 v74, 16, v34
	s_waitcnt lgkmcnt(2)
	v_lshrrev_b32_e32 v75, 16, v39
	;; [unrolled: 2-line block ×3, first 2 shown]
	v_mul_f16_sdwa v82, v15, v34 dst_sel:DWORD dst_unused:UNUSED_PAD src0_sel:WORD_1 src1_sel:DWORD
	v_lshrrev_b32_e32 v78, 16, v40
	v_mul_f16_sdwa v80, v15, v74 dst_sel:DWORD dst_unused:UNUSED_PAD src0_sel:WORD_1 src1_sel:DWORD
	v_mul_f16_sdwa v84, v16, v75 dst_sel:DWORD dst_unused:UNUSED_PAD src0_sel:WORD_1 src1_sel:DWORD
	v_lshrrev_b32_e32 v81, 16, v38
	s_waitcnt lgkmcnt(0)
	v_lshrrev_b32_e32 v83, 16, v53
	v_lshrrev_b32_e32 v73, 16, v35
	v_fmac_f16_e32 v80, v15, v34
	v_mul_f16_sdwa v34, v16, v39 dst_sel:DWORD dst_unused:UNUSED_PAD src0_sel:WORD_1 src1_sel:DWORD
	v_fma_f16 v15, v15, v74, -v82
	v_mul_f16_sdwa v74, v13, v77 dst_sel:DWORD dst_unused:UNUSED_PAD src0_sel:WORD_1 src1_sel:DWORD
	v_fmac_f16_e32 v84, v16, v39
	v_mul_f16_sdwa v39, v13, v37 dst_sel:DWORD dst_unused:UNUSED_PAD src0_sel:WORD_1 src1_sel:DWORD
	v_fma_f16 v16, v16, v75, -v34
	v_mul_f16_sdwa v34, v14, v78 dst_sel:DWORD dst_unused:UNUSED_PAD src0_sel:WORD_1 src1_sel:DWORD
	v_fmac_f16_e32 v74, v13, v37
	v_mul_f16_sdwa v37, v14, v40 dst_sel:DWORD dst_unused:UNUSED_PAD src0_sel:WORD_1 src1_sel:DWORD
	v_fma_f16 v13, v13, v77, -v39
	v_mul_f16_sdwa v39, v11, v81 dst_sel:DWORD dst_unused:UNUSED_PAD src0_sel:WORD_1 src1_sel:DWORD
	v_fmac_f16_e32 v34, v14, v40
	v_mul_f16_sdwa v40, v11, v38 dst_sel:DWORD dst_unused:UNUSED_PAD src0_sel:WORD_1 src1_sel:DWORD
	v_fma_f16 v14, v14, v78, -v37
	v_mul_f16_sdwa v37, v12, v83 dst_sel:DWORD dst_unused:UNUSED_PAD src0_sel:WORD_1 src1_sel:DWORD
	v_fmac_f16_e32 v39, v11, v38
	v_mul_f16_sdwa v38, v12, v53 dst_sel:DWORD dst_unused:UNUSED_PAD src0_sel:WORD_1 src1_sel:DWORD
	v_fma_f16 v11, v11, v81, -v40
	v_mul_f16_sdwa v40, v9, v72 dst_sel:DWORD dst_unused:UNUSED_PAD src0_sel:WORD_1 src1_sel:DWORD
	v_fmac_f16_e32 v37, v12, v53
	v_mul_f16_sdwa v53, v9, v71 dst_sel:DWORD dst_unused:UNUSED_PAD src0_sel:WORD_1 src1_sel:DWORD
	v_fma_f16 v12, v12, v83, -v38
	v_mul_f16_sdwa v38, v10, v70 dst_sel:DWORD dst_unused:UNUSED_PAD src0_sel:WORD_1 src1_sel:DWORD
	v_fmac_f16_e32 v40, v9, v71
	v_mul_f16_sdwa v71, v10, v69 dst_sel:DWORD dst_unused:UNUSED_PAD src0_sel:WORD_1 src1_sel:DWORD
	v_fma_f16 v9, v9, v72, -v53
	v_add_f16_e32 v53, v80, v84
	v_fmac_f16_e32 v38, v10, v69
	v_add_f16_e32 v69, v35, v80
	v_fma_f16 v10, v10, v70, -v71
	v_add_f16_e32 v70, v15, v16
	v_fma_f16 v53, -0.5, v53, v35
	v_sub_f16_e32 v35, v15, v16
	v_add_f16_e32 v15, v73, v15
	v_lshrrev_b32_e32 v76, 16, v36
	v_fmac_f16_e32 v73, -0.5, v70
	v_sub_f16_e32 v70, v80, v84
	v_fmamk_f16 v71, v35, 0xbaee, v53
	v_add_f16_e32 v15, v15, v16
	v_add_f16_e32 v16, v74, v34
	v_fmac_f16_e32 v53, 0x3aee, v35
	v_fmamk_f16 v72, v70, 0x3aee, v73
	v_add_f16_e32 v35, v36, v74
	v_fmac_f16_e32 v73, 0xbaee, v70
	v_add_f16_e32 v70, v13, v14
	v_fmac_f16_e32 v36, -0.5, v16
	v_sub_f16_e32 v16, v13, v14
	v_add_f16_e32 v13, v76, v13
	v_lshrrev_b32_e32 v79, 16, v33
	v_add_f16_e32 v75, v35, v34
	v_fmac_f16_e32 v76, -0.5, v70
	v_sub_f16_e32 v34, v74, v34
	v_add_f16_e32 v13, v13, v14
	v_add_f16_e32 v14, v39, v37
	v_fmamk_f16 v70, v16, 0xbaee, v36
	v_fmac_f16_e32 v36, 0x3aee, v16
	v_fmamk_f16 v16, v34, 0x3aee, v76
	v_add_f16_e32 v35, v33, v39
	v_fmac_f16_e32 v76, 0xbaee, v34
	v_add_f16_e32 v34, v11, v12
	v_fmac_f16_e32 v33, -0.5, v14
	v_sub_f16_e32 v14, v11, v12
	v_add_f16_e32 v11, v79, v11
	v_add_f16_e32 v69, v69, v84
	v_fmac_f16_e32 v79, -0.5, v34
	v_sub_f16_e32 v34, v39, v37
	v_add_f16_e32 v74, v35, v37
	v_add_f16_e32 v11, v11, v12
	;; [unrolled: 1-line block ×3, first 2 shown]
	v_fmamk_f16 v39, v14, 0xbaee, v33
	v_fmac_f16_e32 v33, 0x3aee, v14
	v_fmamk_f16 v14, v34, 0x3aee, v79
	v_fmac_f16_e32 v79, 0xbaee, v34
	v_add_f16_e32 v34, v9, v10
	v_add_f16_e32 v35, v54, v40
	v_fmac_f16_e32 v54, -0.5, v12
	v_sub_f16_e32 v12, v9, v10
	v_add_f16_e32 v9, v55, v9
	v_fmac_f16_e32 v55, -0.5, v34
	v_sub_f16_e32 v40, v40, v38
	v_add_f16_e32 v34, v35, v38
	v_fmamk_f16 v37, v12, 0xbaee, v54
	v_add_f16_e32 v35, v9, v10
	v_pack_b32_f16 v9, v69, v15
	v_pack_b32_f16 v10, v71, v72
	v_fmac_f16_e32 v54, 0x3aee, v12
	v_fmamk_f16 v38, v40, 0x3aee, v55
	v_fmac_f16_e32 v55, 0xbaee, v40
	s_barrier
	buffer_gl0_inv
	ds_write2_b32 v60, v9, v10 offset1:10
	v_pack_b32_f16 v9, v53, v73
	v_pack_b32_f16 v10, v75, v13
	;; [unrolled: 1-line block ×7, first 2 shown]
	ds_write_b32 v60, v9 offset:80
	ds_write2_b32 v59, v10, v12 offset1:10
	ds_write_b32 v59, v13 offset:80
	ds_write2_b32 v58, v11, v14 offset1:10
	ds_write_b32 v58, v15 offset:80
	s_and_saveexec_b32 s1, vcc_lo
	s_cbranch_execz .LBB0_21
; %bb.20:
	v_mad_u16 v9, v56, 30, v57
	v_mov_b32_e32 v10, 2
	v_perm_b32 v11, v35, v34, 0x5040100
	v_perm_b32 v12, v38, v37, 0x5040100
	v_lshlrev_b32_sdwa v9, v10, v9 dst_sel:DWORD dst_unused:UNUSED_PAD src0_sel:DWORD src1_sel:WORD_0
	v_perm_b32 v10, v55, v54, 0x5040100
	ds_write2_b32 v9, v11, v12 offset1:10
	ds_write_b32 v9, v10 offset:80
.LBB0_21:
	s_or_b32 exec_lo, exec_lo, s1
	v_add_nc_u32_e32 v9, 0x500, v42
	v_add_nc_u32_e32 v13, 0x1000, v42
	;; [unrolled: 1-line block ×3, first 2 shown]
	s_waitcnt lgkmcnt(0)
	s_barrier
	buffer_gl0_inv
	ds_read2_b32 v[11:12], v42 offset1:162
	ds_read2_b32 v[9:10], v9 offset0:4 offset1:220
	ds_read2_b32 v[15:16], v13 offset0:56 offset1:218
	;; [unrolled: 1-line block ×3, first 2 shown]
	ds_read_b32 v36, v42 offset:5616
	s_and_saveexec_b32 s1, vcc_lo
	s_cbranch_execz .LBB0_23
; %bb.22:
	ds_read_b32 v34, v42 offset:1944
	ds_read_b32 v37, v42 offset:4104
	;; [unrolled: 1-line block ×3, first 2 shown]
	s_waitcnt lgkmcnt(2)
	v_lshrrev_b32_e32 v35, 16, v34
	s_waitcnt lgkmcnt(1)
	v_lshrrev_b32_e32 v38, 16, v37
	;; [unrolled: 2-line block ×3, first 2 shown]
.LBB0_23:
	s_or_b32 exec_lo, exec_lo, s1
	s_waitcnt lgkmcnt(3)
	v_lshrrev_b32_e32 v40, 16, v10
	s_waitcnt lgkmcnt(2)
	v_lshrrev_b32_e32 v53, 16, v15
	;; [unrolled: 2-line block ×3, first 2 shown]
	v_mul_f16_sdwa v69, v23, v10 dst_sel:DWORD dst_unused:UNUSED_PAD src0_sel:WORD_1 src1_sel:DWORD
	v_lshrrev_b32_e32 v58, 16, v16
	v_mul_f16_sdwa v59, v23, v40 dst_sel:DWORD dst_unused:UNUSED_PAD src0_sel:WORD_1 src1_sel:DWORD
	v_mul_f16_sdwa v71, v24, v53 dst_sel:DWORD dst_unused:UNUSED_PAD src0_sel:WORD_1 src1_sel:DWORD
	v_lshrrev_b32_e32 v60, 16, v14
	s_waitcnt lgkmcnt(0)
	v_lshrrev_b32_e32 v70, 16, v36
	v_lshrrev_b32_e32 v39, 16, v11
	v_fmac_f16_e32 v59, v23, v10
	v_mul_f16_sdwa v10, v24, v15 dst_sel:DWORD dst_unused:UNUSED_PAD src0_sel:WORD_1 src1_sel:DWORD
	v_fma_f16 v23, v23, v40, -v69
	v_mul_f16_sdwa v40, v21, v57 dst_sel:DWORD dst_unused:UNUSED_PAD src0_sel:WORD_1 src1_sel:DWORD
	v_fmac_f16_e32 v71, v24, v15
	v_mul_f16_sdwa v15, v21, v13 dst_sel:DWORD dst_unused:UNUSED_PAD src0_sel:WORD_1 src1_sel:DWORD
	v_fma_f16 v10, v24, v53, -v10
	v_mul_f16_sdwa v24, v22, v58 dst_sel:DWORD dst_unused:UNUSED_PAD src0_sel:WORD_1 src1_sel:DWORD
	;; [unrolled: 4-line block ×6, first 2 shown]
	v_fmac_f16_e32 v19, v17, v37
	v_mul_f16_sdwa v37, v18, v54 dst_sel:DWORD dst_unused:UNUSED_PAD src0_sel:WORD_1 src1_sel:DWORD
	v_fma_f16 v17, v17, v38, -v36
	v_add_f16_e32 v36, v59, v71
	v_fmac_f16_e32 v20, v18, v54
	v_add_f16_e32 v38, v11, v59
	v_fma_f16 v18, v18, v55, -v37
	v_add_f16_e32 v37, v23, v10
	v_fma_f16 v36, -0.5, v36, v11
	v_sub_f16_e32 v11, v23, v10
	v_add_f16_e32 v23, v39, v23
	v_lshrrev_b32_e32 v56, 16, v12
	v_fmac_f16_e32 v39, -0.5, v37
	v_sub_f16_e32 v37, v59, v71
	v_fmamk_f16 v53, v11, 0xbaee, v36
	v_fmac_f16_e32 v36, 0x3aee, v11
	v_add_f16_e32 v23, v23, v10
	v_add_f16_e32 v10, v40, v24
	;; [unrolled: 1-line block ×3, first 2 shown]
	v_fmamk_f16 v54, v37, 0x3aee, v39
	v_fmac_f16_e32 v39, 0xbaee, v37
	v_add_f16_e32 v37, v15, v13
	v_fmac_f16_e32 v12, -0.5, v10
	v_sub_f16_e32 v10, v15, v13
	v_add_f16_e32 v55, v11, v24
	v_add_f16_e32 v11, v56, v15
	v_lshrrev_b32_e32 v33, 16, v9
	v_fmac_f16_e32 v56, -0.5, v37
	v_sub_f16_e32 v15, v40, v24
	v_fmamk_f16 v24, v10, 0xbaee, v12
	v_fmac_f16_e32 v12, 0x3aee, v10
	v_add_f16_e32 v37, v11, v13
	v_add_f16_e32 v10, v21, v22
	;; [unrolled: 1-line block ×4, first 2 shown]
	v_fmamk_f16 v40, v15, 0x3aee, v56
	v_fmac_f16_e32 v56, 0xbaee, v15
	v_fmac_f16_e32 v9, -0.5, v10
	v_sub_f16_e32 v15, v16, v14
	v_add_f16_e32 v10, v11, v22
	v_add_f16_e32 v11, v33, v16
	v_fmac_f16_e32 v33, -0.5, v13
	v_sub_f16_e32 v21, v21, v22
	v_fmamk_f16 v13, v15, 0xbaee, v9
	v_fmac_f16_e32 v9, 0x3aee, v15
	v_add_f16_e32 v11, v11, v14
	v_add_f16_e32 v14, v19, v20
	;; [unrolled: 1-line block ×4, first 2 shown]
	v_fmamk_f16 v16, v21, 0x3aee, v33
	v_fmac_f16_e32 v33, 0xbaee, v21
	v_add_f16_e32 v21, v34, v19
	v_fmac_f16_e32 v34, -0.5, v14
	v_sub_f16_e32 v22, v17, v18
	v_add_f16_e32 v17, v35, v17
	v_fmac_f16_e32 v35, -0.5, v15
	v_sub_f16_e32 v19, v19, v20
	v_add_f16_e32 v15, v21, v20
	v_pack_b32_f16 v20, v38, v23
	v_pack_b32_f16 v21, v53, v54
	v_fmamk_f16 v14, v22, 0xbaee, v34
	v_fmac_f16_e32 v34, 0x3aee, v22
	v_add_f16_e32 v18, v17, v18
	v_fmamk_f16 v17, v19, 0x3aee, v35
	v_fmac_f16_e32 v35, 0xbaee, v19
	v_pack_b32_f16 v19, v36, v39
	s_barrier
	buffer_gl0_inv
	ds_write2_b32 v64, v20, v21 offset1:30
	v_pack_b32_f16 v20, v55, v37
	v_pack_b32_f16 v21, v24, v40
	;; [unrolled: 1-line block ×6, first 2 shown]
	ds_write_b32 v64, v19 offset:240
	ds_write2_b32 v63, v20, v21 offset1:30
	ds_write_b32 v63, v12 offset:240
	ds_write2_b32 v62, v22, v23 offset1:30
	ds_write_b32 v62, v24 offset:240
	s_and_saveexec_b32 s1, vcc_lo
	s_cbranch_execz .LBB0_25
; %bb.24:
	v_mov_b32_e32 v12, 2
	v_perm_b32 v19, v18, v15, 0x5040100
	v_perm_b32 v20, v17, v14, 0x5040100
	v_perm_b32 v21, v35, v34, 0x5040100
	v_lshlrev_b32_sdwa v12, v12, v61 dst_sel:DWORD dst_unused:UNUSED_PAD src0_sel:DWORD src1_sel:WORD_0
	ds_write2_b32 v12, v19, v20 offset1:30
	ds_write_b32 v12, v21 offset:240
.LBB0_25:
	s_or_b32 exec_lo, exec_lo, s1
	s_waitcnt lgkmcnt(0)
	s_barrier
	buffer_gl0_inv
	ds_read_b32 v12, v42
	ds_read_b32 v23, v42 offset:1080
	ds_read_b32 v22, v42 offset:2160
	;; [unrolled: 1-line block ×5, first 2 shown]
	s_and_saveexec_b32 s1, s0
	s_cbranch_execz .LBB0_27
; %bb.26:
	ds_read_b32 v10, v42 offset:648
	ds_read_b32 v13, v42 offset:1728
	;; [unrolled: 1-line block ×6, first 2 shown]
	s_waitcnt lgkmcnt(5)
	v_lshrrev_b32_e32 v11, 16, v10
	s_waitcnt lgkmcnt(4)
	v_lshrrev_b32_e32 v16, 16, v13
	;; [unrolled: 2-line block ×6, first 2 shown]
.LBB0_27:
	s_or_b32 exec_lo, exec_lo, s1
	s_waitcnt lgkmcnt(4)
	v_lshrrev_b32_e32 v24, 16, v23
	s_waitcnt lgkmcnt(3)
	v_lshrrev_b32_e32 v37, 16, v22
	;; [unrolled: 2-line block ×4, first 2 shown]
	v_mul_f16_sdwa v53, v4, v23 dst_sel:DWORD dst_unused:UNUSED_PAD src0_sel:WORD_1 src1_sel:DWORD
	v_mul_f16_sdwa v40, v4, v24 dst_sel:DWORD dst_unused:UNUSED_PAD src0_sel:WORD_1 src1_sel:DWORD
	;; [unrolled: 1-line block ×3, first 2 shown]
	s_waitcnt lgkmcnt(0)
	v_lshrrev_b32_e32 v54, 16, v19
	v_mul_f16_sdwa v56, v5, v22 dst_sel:DWORD dst_unused:UNUSED_PAD src0_sel:WORD_1 src1_sel:DWORD
	v_lshrrev_b32_e32 v36, 16, v12
	v_fmac_f16_e32 v40, v4, v23
	v_mul_f16_sdwa v23, v6, v38 dst_sel:DWORD dst_unused:UNUSED_PAD src0_sel:WORD_1 src1_sel:DWORD
	v_fma_f16 v4, v4, v24, -v53
	v_fmac_f16_e32 v55, v5, v22
	v_mul_f16_sdwa v22, v6, v21 dst_sel:DWORD dst_unused:UNUSED_PAD src0_sel:WORD_1 src1_sel:DWORD
	v_mul_f16_sdwa v24, v7, v39 dst_sel:DWORD dst_unused:UNUSED_PAD src0_sel:WORD_1 src1_sel:DWORD
	v_fmac_f16_e32 v23, v6, v21
	v_mul_f16_sdwa v21, v7, v20 dst_sel:DWORD dst_unused:UNUSED_PAD src0_sel:WORD_1 src1_sel:DWORD
	v_fma_f16 v5, v5, v37, -v56
	v_fma_f16 v6, v6, v38, -v22
	v_mul_f16_sdwa v22, v67, v54 dst_sel:DWORD dst_unused:UNUSED_PAD src0_sel:WORD_1 src1_sel:DWORD
	v_fmac_f16_e32 v24, v7, v20
	v_fma_f16 v7, v7, v39, -v21
	v_mul_f16_sdwa v21, v0, v16 dst_sel:DWORD dst_unused:UNUSED_PAD src0_sel:WORD_1 src1_sel:DWORD
	v_mul_f16_sdwa v20, v67, v19 dst_sel:DWORD dst_unused:UNUSED_PAD src0_sel:WORD_1 src1_sel:DWORD
	v_fmac_f16_e32 v22, v67, v19
	v_mul_f16_sdwa v19, v0, v13 dst_sel:DWORD dst_unused:UNUSED_PAD src0_sel:WORD_1 src1_sel:DWORD
	v_mul_f16_sdwa v37, v1, v33 dst_sel:DWORD dst_unused:UNUSED_PAD src0_sel:WORD_1 src1_sel:DWORD
	v_fmac_f16_e32 v21, v0, v13
	v_mul_f16_sdwa v13, v1, v9 dst_sel:DWORD dst_unused:UNUSED_PAD src0_sel:WORD_1 src1_sel:DWORD
	v_fma_f16 v20, v67, v54, -v20
	v_fma_f16 v16, v0, v16, -v19
	v_mul_f16_sdwa v19, v2, v18 dst_sel:DWORD dst_unused:UNUSED_PAD src0_sel:WORD_1 src1_sel:DWORD
	v_fmac_f16_e32 v37, v1, v9
	v_mul_f16_sdwa v0, v2, v15 dst_sel:DWORD dst_unused:UNUSED_PAD src0_sel:WORD_1 src1_sel:DWORD
	v_fma_f16 v1, v1, v33, -v13
	v_mul_f16_sdwa v9, v3, v17 dst_sel:DWORD dst_unused:UNUSED_PAD src0_sel:WORD_1 src1_sel:DWORD
	v_mul_f16_sdwa v13, v3, v14 dst_sel:DWORD dst_unused:UNUSED_PAD src0_sel:WORD_1 src1_sel:DWORD
	v_fmac_f16_e32 v19, v2, v15
	v_fma_f16 v15, v2, v18, -v0
	v_mul_f16_sdwa v0, v66, v34 dst_sel:DWORD dst_unused:UNUSED_PAD src0_sel:WORD_1 src1_sel:DWORD
	v_fmac_f16_e32 v9, v3, v14
	v_fma_f16 v2, v3, v17, -v13
	v_add_f16_e32 v3, v55, v24
	v_add_f16_e32 v13, v12, v55
	v_fma_f16 v14, v66, v35, -v0
	v_add_f16_e32 v0, v5, v7
	v_add_f16_e32 v33, v4, v6
	v_fmac_f16_e32 v12, -0.5, v3
	v_sub_f16_e32 v3, v5, v7
	v_add_f16_e32 v13, v13, v24
	v_add_f16_e32 v5, v36, v5
	v_fmac_f16_e32 v36, -0.5, v0
	v_sub_f16_e32 v0, v55, v24
	v_fmamk_f16 v17, v3, 0xbaee, v12
	v_fmac_f16_e32 v12, 0x3aee, v3
	v_add_f16_e32 v3, v6, v20
	v_add_f16_e32 v24, v23, v22
	;; [unrolled: 1-line block ×3, first 2 shown]
	v_fmamk_f16 v7, v0, 0x3aee, v36
	v_sub_f16_e32 v6, v6, v20
	v_fmac_f16_e32 v4, -0.5, v3
	v_sub_f16_e32 v3, v23, v22
	v_add_f16_e32 v23, v40, v23
	v_fmac_f16_e32 v40, -0.5, v24
	v_fmac_f16_e32 v36, 0xbaee, v0
	v_mul_f16_sdwa v18, v66, v35 dst_sel:DWORD dst_unused:UNUSED_PAD src0_sel:WORD_1 src1_sel:DWORD
	v_fmamk_f16 v0, v3, 0x3aee, v4
	v_fmac_f16_e32 v4, 0xbaee, v3
	v_add_f16_e32 v3, v23, v22
	v_fmamk_f16 v22, v6, 0xbaee, v40
	v_fmac_f16_e32 v40, 0x3aee, v6
	v_mul_f16_e32 v6, 0xbaee, v0
	v_mul_f16_e32 v23, 0xbaee, v4
	v_mul_f16_e32 v0, 0.5, v0
	v_mul_f16_e32 v4, -0.5, v4
	v_add_f16_e32 v20, v33, v20
	v_fmac_f16_e32 v6, 0.5, v22
	v_fmac_f16_e32 v18, v66, v34
	v_fmac_f16_e32 v0, 0x3aee, v22
	;; [unrolled: 1-line block ×3, first 2 shown]
	v_fmac_f16_e32 v23, -0.5, v40
	v_add_f16_e32 v24, v13, v3
	v_add_f16_e32 v22, v17, v6
	;; [unrolled: 1-line block ×5, first 2 shown]
	v_sub_f16_e32 v39, v13, v3
	v_sub_f16_e32 v40, v17, v6
	;; [unrolled: 1-line block ×3, first 2 shown]
	v_add_f16_e32 v3, v37, v9
	v_sub_f16_e32 v53, v7, v0
	v_add_f16_e32 v0, v10, v37
	v_sub_f16_e32 v36, v36, v4
	v_add_f16_e32 v4, v1, v2
	v_add_f16_e32 v5, v11, v1
	;; [unrolled: 1-line block ×3, first 2 shown]
	v_fmac_f16_e32 v10, -0.5, v3
	v_sub_f16_e32 v3, v1, v2
	v_add_f16_e32 v0, v0, v9
	v_fmac_f16_e32 v11, -0.5, v4
	v_sub_f16_e32 v4, v37, v9
	v_add_f16_e32 v2, v5, v2
	v_add_f16_e32 v5, v19, v18
	;; [unrolled: 1-line block ×3, first 2 shown]
	v_fmac_f16_e32 v16, -0.5, v6
	v_sub_f16_e32 v6, v19, v18
	v_add_f16_e32 v33, v12, v23
	v_sub_f16_e32 v23, v12, v23
	v_add_f16_e32 v7, v21, v19
	v_fmac_f16_e32 v21, -0.5, v5
	v_sub_f16_e32 v5, v15, v14
	v_fmamk_f16 v12, v6, 0x3aee, v16
	v_fmac_f16_e32 v16, 0xbaee, v6
	v_fmamk_f16 v1, v3, 0xbaee, v10
	v_fmac_f16_e32 v10, 0x3aee, v3
	;; [unrolled: 2-line block ×3, first 2 shown]
	v_add_f16_e32 v4, v7, v18
	v_fmamk_f16 v13, v5, 0xbaee, v21
	v_fmac_f16_e32 v21, 0x3aee, v5
	v_mul_f16_e32 v5, 0xbaee, v12
	v_mul_f16_e32 v6, 0xbaee, v16
	v_mul_f16_e32 v7, 0.5, v12
	v_mul_f16_e32 v18, -0.5, v16
	v_add_f16_e32 v17, v9, v14
	v_fmac_f16_e32 v5, 0.5, v13
	v_fmac_f16_e32 v6, -0.5, v21
	v_fmac_f16_e32 v7, 0x3aee, v13
	v_fmac_f16_e32 v18, 0x3aee, v21
	v_sub_f16_e32 v9, v0, v4
	v_sub_f16_e32 v13, v1, v5
	;; [unrolled: 1-line block ×6, first 2 shown]
	v_pack_b32_f16 v19, v24, v34
	v_pack_b32_f16 v21, v22, v35
	;; [unrolled: 1-line block ×4, first 2 shown]
	v_add_nc_u32_e32 v24, 0x200, v65
	v_pack_b32_f16 v33, v40, v53
	v_pack_b32_f16 v23, v23, v36
	v_add_nc_u32_e32 v34, 0x400, v65
	s_barrier
	buffer_gl0_inv
	ds_write2_b32 v65, v19, v21 offset1:90
	ds_write2_b32 v24, v22, v20 offset0:52 offset1:142
	ds_write2_b32 v34, v33, v23 offset0:104 offset1:194
	s_and_saveexec_b32 s1, s0
	s_cbranch_execz .LBB0_29
; %bb.28:
	v_add_f16_e32 v3, v3, v7
	v_mov_b32_e32 v7, 2
	v_add_f16_e32 v2, v2, v17
	v_add_f16_e32 v0, v0, v4
	;; [unrolled: 1-line block ×5, first 2 shown]
	v_lshlrev_b32_sdwa v5, v7, v68 dst_sel:DWORD dst_unused:UNUSED_PAD src0_sel:DWORD src1_sel:WORD_0
	v_pack_b32_f16 v0, v0, v2
	v_pack_b32_f16 v1, v1, v3
	v_perm_b32 v3, v12, v9, 0x5040100
	v_pack_b32_f16 v2, v4, v11
	v_add_nc_u32_e32 v4, 0x200, v5
	v_perm_b32 v6, v15, v13, 0x5040100
	v_perm_b32 v7, v16, v14, 0x5040100
	v_add_nc_u32_e32 v10, 0x400, v5
	ds_write2_b32 v5, v0, v1 offset1:90
	ds_write2_b32 v4, v2, v3 offset0:52 offset1:142
	ds_write2_b32 v10, v6, v7 offset0:104 offset1:194
.LBB0_29:
	s_or_b32 exec_lo, exec_lo, s1
	v_add_nc_u32_e32 v0, 0x500, v42
	v_add_nc_u32_e32 v4, 0x1000, v42
	;; [unrolled: 1-line block ×3, first 2 shown]
	s_waitcnt lgkmcnt(0)
	s_barrier
	buffer_gl0_inv
	ds_read2_b32 v[2:3], v42 offset1:162
	ds_read2_b32 v[0:1], v0 offset0:4 offset1:220
	ds_read2_b32 v[6:7], v4 offset0:56 offset1:218
	;; [unrolled: 1-line block ×3, first 2 shown]
	ds_read_b32 v11, v42 offset:5616
	s_and_saveexec_b32 s0, vcc_lo
	s_cbranch_execz .LBB0_31
; %bb.30:
	ds_read_b32 v9, v42 offset:1944
	ds_read_b32 v13, v42 offset:4104
	;; [unrolled: 1-line block ×3, first 2 shown]
	s_waitcnt lgkmcnt(2)
	v_lshrrev_b32_e32 v12, 16, v9
	s_waitcnt lgkmcnt(1)
	v_lshrrev_b32_e32 v15, 16, v13
	;; [unrolled: 2-line block ×3, first 2 shown]
.LBB0_31:
	s_or_b32 exec_lo, exec_lo, s0
	s_waitcnt lgkmcnt(3)
	v_lshrrev_b32_e32 v18, 16, v1
	s_waitcnt lgkmcnt(2)
	v_lshrrev_b32_e32 v19, 16, v6
	;; [unrolled: 2-line block ×3, first 2 shown]
	v_lshrrev_b32_e32 v22, 16, v7
	v_mul_f16_sdwa v34, v29, v1 dst_sel:DWORD dst_unused:UNUSED_PAD src0_sel:WORD_1 src1_sel:DWORD
	v_mul_f16_sdwa v24, v29, v18 dst_sel:DWORD dst_unused:UNUSED_PAD src0_sel:WORD_1 src1_sel:DWORD
	;; [unrolled: 1-line block ×3, first 2 shown]
	v_lshrrev_b32_e32 v33, 16, v5
	s_waitcnt lgkmcnt(0)
	v_lshrrev_b32_e32 v35, 16, v11
	v_fma_f16 v18, v29, v18, -v34
	v_fmac_f16_e32 v24, v29, v1
	v_mul_f16_sdwa v1, v30, v6 dst_sel:DWORD dst_unused:UNUSED_PAD src0_sel:WORD_1 src1_sel:DWORD
	v_mul_f16_sdwa v29, v31, v21 dst_sel:DWORD dst_unused:UNUSED_PAD src0_sel:WORD_1 src1_sel:DWORD
	v_fmac_f16_e32 v36, v30, v6
	v_mul_f16_sdwa v6, v31, v4 dst_sel:DWORD dst_unused:UNUSED_PAD src0_sel:WORD_1 src1_sel:DWORD
	v_lshrrev_b32_e32 v17, 16, v2
	v_fma_f16 v1, v30, v19, -v1
	v_mul_f16_sdwa v19, v32, v22 dst_sel:DWORD dst_unused:UNUSED_PAD src0_sel:WORD_1 src1_sel:DWORD
	v_fmac_f16_e32 v29, v31, v4
	v_mul_f16_sdwa v4, v32, v7 dst_sel:DWORD dst_unused:UNUSED_PAD src0_sel:WORD_1 src1_sel:DWORD
	v_fma_f16 v6, v31, v21, -v6
	v_mul_f16_sdwa v21, v27, v33 dst_sel:DWORD dst_unused:UNUSED_PAD src0_sel:WORD_1 src1_sel:DWORD
	v_fmac_f16_e32 v19, v32, v7
	v_mul_f16_sdwa v7, v27, v5 dst_sel:DWORD dst_unused:UNUSED_PAD src0_sel:WORD_1 src1_sel:DWORD
	;; [unrolled: 4-line block ×3, first 2 shown]
	v_fma_f16 v7, v27, v33, -v7
	v_add_f16_e32 v27, v24, v36
	v_fmac_f16_e32 v22, v28, v11
	v_add_f16_e32 v11, v2, v24
	v_fma_f16 v5, v28, v35, -v5
	v_add_f16_e32 v28, v18, v1
	v_fma_f16 v2, -0.5, v27, v2
	v_sub_f16_e32 v27, v18, v1
	v_add_f16_e32 v18, v17, v18
	v_sub_f16_e32 v24, v24, v36
	v_fmac_f16_e32 v17, -0.5, v28
	v_add_f16_e32 v30, v3, v29
	v_lshrrev_b32_e32 v20, 16, v3
	v_add_f16_e32 v1, v18, v1
	v_add_f16_e32 v18, v29, v19
	v_lshrrev_b32_e32 v23, 16, v0
	v_fmamk_f16 v28, v27, 0xbaee, v2
	v_fmac_f16_e32 v2, 0x3aee, v27
	v_fmamk_f16 v27, v24, 0x3aee, v17
	v_fmac_f16_e32 v17, 0xbaee, v24
	v_add_f16_e32 v24, v6, v4
	v_fmac_f16_e32 v3, -0.5, v18
	v_sub_f16_e32 v18, v6, v4
	v_add_f16_e32 v30, v30, v19
	v_sub_f16_e32 v19, v29, v19
	v_add_f16_e32 v29, v21, v22
	v_add_f16_e32 v31, v7, v5
	;; [unrolled: 1-line block ×3, first 2 shown]
	v_fmac_f16_e32 v20, -0.5, v24
	v_fmamk_f16 v24, v18, 0xbaee, v3
	v_fmac_f16_e32 v3, 0x3aee, v18
	v_add_f16_e32 v18, v0, v21
	v_fmac_f16_e32 v0, -0.5, v29
	v_sub_f16_e32 v29, v7, v5
	v_add_f16_e32 v7, v23, v7
	v_fmac_f16_e32 v23, -0.5, v31
	v_sub_f16_e32 v21, v21, v22
	v_add_f16_e32 v11, v11, v36
	v_add_f16_e32 v4, v6, v4
	;; [unrolled: 1-line block ×3, first 2 shown]
	v_pack_b32_f16 v7, v28, v27
	v_fmamk_f16 v6, v19, 0x3aee, v20
	v_fmac_f16_e32 v20, 0xbaee, v19
	v_pack_b32_f16 v2, v2, v17
	v_add_f16_e32 v18, v18, v22
	v_fmamk_f16 v19, v29, 0xbaee, v0
	v_fmamk_f16 v17, v21, 0x3aee, v23
	v_fmac_f16_e32 v0, 0x3aee, v29
	v_fmac_f16_e32 v23, 0xbaee, v21
	v_pack_b32_f16 v1, v11, v1
	ds_write_b32 v42, v7 offset:2160
	ds_write_b32 v42, v2 offset:4320
	v_pack_b32_f16 v2, v30, v4
	v_pack_b32_f16 v3, v3, v20
	;; [unrolled: 1-line block ×6, first 2 shown]
	ds_write2_b32 v42, v1, v2 offset1:162
	ds_write_b32 v42, v3 offset:4968
	ds_write_b32 v42, v5 offset:1296
	ds_write2_b32 v10, v4, v6 offset0:62 offset1:224
	ds_write_b32 v42, v0 offset:5616
	s_and_saveexec_b32 s0, vcc_lo
	s_cbranch_execz .LBB0_33
; %bb.32:
	v_mul_f16_sdwa v0, v25, v13 dst_sel:DWORD dst_unused:UNUSED_PAD src0_sel:WORD_1 src1_sel:DWORD
	v_mul_f16_sdwa v1, v26, v14 dst_sel:DWORD dst_unused:UNUSED_PAD src0_sel:WORD_1 src1_sel:DWORD
	;; [unrolled: 1-line block ×4, first 2 shown]
	v_fma_f16 v0, v25, v15, -v0
	v_fma_f16 v1, v26, v16, -v1
	v_fmac_f16_e32 v2, v25, v13
	v_fmac_f16_e32 v3, v26, v14
	v_add_f16_e32 v7, v12, v0
	v_add_f16_e32 v4, v0, v1
	v_sub_f16_e32 v0, v0, v1
	v_add_f16_e32 v6, v2, v3
	v_sub_f16_e32 v5, v2, v3
	v_add_f16_e32 v2, v9, v2
	v_fma_f16 v4, -0.5, v4, v12
	v_add_f16_e32 v1, v7, v1
	v_fma_f16 v6, -0.5, v6, v9
	v_add_f16_e32 v2, v2, v3
	v_fmamk_f16 v3, v5, 0xbaee, v4
	v_fmac_f16_e32 v4, 0x3aee, v5
	v_fmamk_f16 v5, v0, 0x3aee, v6
	v_fmac_f16_e32 v6, 0xbaee, v0
	v_pack_b32_f16 v0, v2, v1
	v_pack_b32_f16 v2, v5, v3
	;; [unrolled: 1-line block ×3, first 2 shown]
	ds_write_b32 v42, v0 offset:1944
	ds_write_b32 v42, v1 offset:4104
	;; [unrolled: 1-line block ×3, first 2 shown]
.LBB0_33:
	s_or_b32 exec_lo, exec_lo, s0
	s_waitcnt lgkmcnt(0)
	s_barrier
	buffer_gl0_inv
	ds_read2_b32 v[0:1], v42 offset1:162
	v_add_nc_u32_e32 v4, 0x400, v42
	s_mov_b32 s6, 0x30abee4d
	s_mov_b32 s7, 0x3f443a27
	s_mul_i32 s3, s8, 0x288
	s_waitcnt lgkmcnt(0)
	v_lshrrev_b32_e32 v2, 16, v0
	v_mul_f16_sdwa v3, v51, v0 dst_sel:DWORD dst_unused:UNUSED_PAD src0_sel:WORD_1 src1_sel:DWORD
	v_lshrrev_b32_e32 v6, 16, v1
	v_mul_f16_sdwa v5, v52, v1 dst_sel:DWORD dst_unused:UNUSED_PAD src0_sel:WORD_1 src1_sel:DWORD
	v_mul_f16_sdwa v9, v51, v2 dst_sel:DWORD dst_unused:UNUSED_PAD src0_sel:WORD_1 src1_sel:DWORD
	v_fma_f16 v7, v51, v2, -v3
	v_mul_f16_sdwa v13, v52, v6 dst_sel:DWORD dst_unused:UNUSED_PAD src0_sel:WORD_1 src1_sel:DWORD
	v_fma_f16 v10, v52, v6, -v5
	ds_read2_b32 v[4:5], v4 offset0:68 offset1:230
	v_fmac_f16_e32 v9, v51, v0
	v_cvt_f32_f16_e32 v7, v7
	v_fmac_f16_e32 v13, v52, v1
	v_cvt_f32_f16_e32 v0, v10
	v_mad_u64_u32 v[2:3], null, s10, v8, 0
	v_cvt_f64_f32_e32 v[6:7], v7
	v_cvt_f32_f16_e32 v14, v9
	v_cvt_f64_f32_e32 v[11:12], v0
	v_mad_u64_u32 v[9:10], null, s8, v50, 0
	v_cvt_f32_f16_e32 v15, v13
	v_cvt_f64_f32_e32 v[0:1], v14
	s_waitcnt lgkmcnt(0)
	v_mad_u64_u32 v[13:14], null, s11, v8, v[3:4]
	v_cvt_f64_f32_e32 v[14:15], v15
	v_mov_b32_e32 v3, v13
	v_mul_f64 v[6:7], v[6:7], s[6:7]
	v_mad_u64_u32 v[16:17], null, s9, v50, v[10:11]
	v_mul_f64 v[11:12], v[11:12], s[6:7]
	v_lshlrev_b64 v[2:3], 2, v[2:3]
	v_mul_f64 v[0:1], v[0:1], s[6:7]
	v_lshrrev_b32_e32 v17, 16, v4
	v_mov_b32_e32 v10, v16
	v_mul_f16_sdwa v13, v49, v17 dst_sel:DWORD dst_unused:UNUSED_PAD src0_sel:WORD_1 src1_sel:DWORD
	v_lshlrev_b64 v[8:9], 2, v[9:10]
	v_add_co_u32 v10, vcc_lo, s4, v2
	v_add_co_ci_u32_e32 v16, vcc_lo, s5, v3, vcc_lo
	v_mul_f64 v[2:3], v[14:15], s[6:7]
	v_add_co_u32 v8, vcc_lo, v10, v8
	v_and_or_b32 v6, 0x1ff, v7, v6
	v_add_co_ci_u32_e32 v9, vcc_lo, v16, v9, vcc_lo
	v_and_or_b32 v11, 0x1ff, v12, v11
	v_bfe_u32 v15, v7, 20, 11
	v_cmp_ne_u32_e32 vcc_lo, 0, v6
	v_and_or_b32 v0, 0x1ff, v1, v0
	v_bfe_u32 v18, v12, 20, 11
	v_lshrrev_b32_e32 v19, 8, v1
	v_bfe_u32 v20, v1, 20, 11
	v_cndmask_b32_e64 v6, 0, 1, vcc_lo
	v_cmp_ne_u32_e32 vcc_lo, 0, v11
	v_lshrrev_b32_e32 v10, 8, v7
	v_lshrrev_b32_e32 v16, 8, v12
	v_sub_nc_u32_e32 v21, 0x3f1, v15
	v_sub_nc_u32_e32 v24, 0x3f1, v18
	v_cndmask_b32_e64 v11, 0, 1, vcc_lo
	v_cmp_ne_u32_e32 vcc_lo, 0, v0
	v_sub_nc_u32_e32 v25, 0x3f1, v20
	v_and_or_b32 v2, 0x1ff, v3, v2
	v_bfe_u32 v23, v3, 20, 11
	v_and_or_b32 v6, 0xffe, v10, v6
	v_cndmask_b32_e64 v0, 0, 1, vcc_lo
	v_med3_i32 v10, v21, 0, 13
	v_cmp_ne_u32_e32 vcc_lo, 0, v2
	v_sub_nc_u32_e32 v21, 0x3f1, v23
	v_and_or_b32 v11, 0xffe, v16, v11
	v_and_or_b32 v0, 0xffe, v19, v0
	v_add_nc_u32_e32 v19, 0xfffffc10, v23
	v_med3_i32 v16, v24, 0, 13
	v_med3_i32 v23, v25, 0, 13
	v_add_nc_u32_e32 v15, 0xfffffc10, v15
	v_or_b32_e32 v24, 0x1000, v0
	v_lshrrev_b32_e32 v22, 8, v3
	v_cndmask_b32_e64 v2, 0, 1, vcc_lo
	v_or_b32_e32 v25, 0x1000, v6
	v_cmp_ne_u32_e32 vcc_lo, 0, v6
	v_lshrrev_b32_e32 v27, v23, v24
	v_add_nc_u32_e32 v20, 0xfffffc10, v20
	v_lshl_or_b32 v26, v15, 12, v6
	v_and_or_b32 v2, 0xffe, v22, v2
	v_cndmask_b32_e64 v6, 0, 1, vcc_lo
	v_lshrrev_b32_e32 v22, v10, v25
	v_lshlrev_b32_e32 v23, v23, v27
	v_cmp_ne_u32_e32 vcc_lo, 0, v0
	v_lshl_or_b32 v29, v20, 12, v0
	v_med3_i32 v21, v21, 0, 13
	v_lshlrev_b32_e32 v10, v10, v22
	v_fmac_f16_e32 v13, v49, v4
	v_cndmask_b32_e64 v0, 0, 1, vcc_lo
	v_cmp_ne_u32_e32 vcc_lo, v23, v24
	v_or_b32_e32 v24, 0x1000, v2
	v_or_b32_e32 v28, 0x1000, v11
	v_cvt_f32_f16_e32 v13, v13
	v_lshl_or_b32 v0, v0, 9, 0x7c00
	v_cndmask_b32_e64 v23, 0, 1, vcc_lo
	v_cmp_ne_u32_e32 vcc_lo, v10, v25
	v_lshl_or_b32 v25, v19, 12, v2
	v_cvt_f64_f32_e32 v[13:14], v13
	v_lshrrev_b32_e32 v1, 16, v1
	v_or_b32_e32 v23, v27, v23
	v_cndmask_b32_e64 v10, 0, 1, vcc_lo
	v_cmp_gt_i32_e32 vcc_lo, 1, v20
	v_lshl_or_b32 v6, v6, 9, 0x7c00
	v_lshrrev_b32_e32 v7, 16, v7
	v_mul_f16_sdwa v4, v49, v4 dst_sel:DWORD dst_unused:UNUSED_PAD src0_sel:WORD_1 src1_sel:DWORD
	v_or_b32_e32 v10, v22, v10
	v_lshrrev_b32_e32 v22, v21, v24
	v_cndmask_b32_e32 v23, v29, v23, vcc_lo
	v_cmp_gt_i32_e32 vcc_lo, 1, v15
	v_fma_f16 v4, v49, v17, -v4
	v_lshrrev_b32_e32 v12, 16, v12
	v_lshlrev_b32_e32 v21, v21, v22
	v_and_b32_e32 v27, 7, v23
	v_cndmask_b32_e32 v10, v26, v10, vcc_lo
	v_lshrrev_b32_e32 v23, 2, v23
	v_lshrrev_b32_e32 v26, v16, v28
	v_cmp_ne_u32_e32 vcc_lo, v21, v24
	v_cmp_eq_u32_e64 s0, 3, v27
	v_and_b32_e32 v29, 7, v10
	v_lshrrev_b32_e32 v10, 2, v10
	v_cvt_f32_f16_e32 v4, v4
	v_cndmask_b32_e64 v21, 0, 1, vcc_lo
	v_cmp_lt_i32_e32 vcc_lo, 5, v27
	v_cmp_lt_i32_e64 s1, 5, v29
	v_cmp_eq_u32_e64 s2, 3, v29
	v_or_b32_e32 v21, v22, v21
	s_or_b32 vcc_lo, s0, vcc_lo
	v_add_co_ci_u32_e32 v23, vcc_lo, 0, v23, vcc_lo
	s_or_b32 vcc_lo, s2, s1
	s_mul_hi_u32 s2, s8, 0x288
	v_add_co_ci_u32_e32 v10, vcc_lo, 0, v10, vcc_lo
	v_cmp_gt_i32_e32 vcc_lo, 31, v20
	v_cndmask_b32_e32 v23, 0x7c00, v23, vcc_lo
	v_cmp_gt_i32_e32 vcc_lo, 31, v15
	v_cndmask_b32_e32 v10, 0x7c00, v10, vcc_lo
	v_cmp_eq_u32_e32 vcc_lo, 0x40f, v20
	v_cndmask_b32_e32 v0, v23, v0, vcc_lo
	v_cmp_gt_i32_e32 vcc_lo, 1, v19
	v_cndmask_b32_e32 v20, v25, v21, vcc_lo
	v_cmp_eq_u32_e32 vcc_lo, 0x40f, v15
	v_lshlrev_b32_e32 v15, v16, v26
	v_cndmask_b32_e32 v6, v10, v6, vcc_lo
	v_and_or_b32 v10, 0x8000, v1, v0
	v_mul_f64 v[0:1], v[13:14], s[6:7]
	v_and_b32_e32 v13, 7, v20
	v_cmp_ne_u32_e32 vcc_lo, v15, v28
	v_and_or_b32 v6, 0x8000, v7, v6
	v_and_b32_e32 v7, 0xffff, v10
	v_add_nc_u32_e32 v15, 0xfffffc10, v18
	v_cmp_eq_u32_e64 s0, 3, v13
	v_cndmask_b32_e64 v10, 0, 1, vcc_lo
	v_cmp_lt_i32_e32 vcc_lo, 5, v13
	v_lshrrev_b32_e32 v13, 2, v20
	v_lshl_or_b32 v14, v6, 16, v7
	v_or_b32_e32 v7, v26, v10
	s_or_b32 vcc_lo, s0, vcc_lo
	v_lshl_or_b32 v10, v15, 12, v11
	v_add_co_ci_u32_e32 v6, vcc_lo, 0, v13, vcc_lo
	v_cmp_ne_u32_e32 vcc_lo, 0, v2
	global_store_dword v[8:9], v14, off
	v_cndmask_b32_e64 v2, 0, 1, vcc_lo
	v_cmp_gt_i32_e32 vcc_lo, 1, v15
	v_and_or_b32 v0, 0x1ff, v1, v0
	v_lshl_or_b32 v2, v2, 9, 0x7c00
	v_cndmask_b32_e32 v10, v10, v7, vcc_lo
	v_cmp_gt_i32_e32 vcc_lo, 31, v19
	v_cmp_ne_u32_e64 s1, 0, v0
	v_and_b32_e32 v16, 7, v10
	v_cndmask_b32_e32 v13, 0x7c00, v6, vcc_lo
	v_cvt_f64_f32_e32 v[6:7], v4
	v_cmp_eq_u32_e32 vcc_lo, 0x40f, v19
	v_cndmask_b32_e64 v0, 0, 1, s1
	v_cmp_eq_u32_e64 s0, 3, v16
	v_lshrrev_b32_e32 v19, 16, v3
	v_cndmask_b32_e32 v4, v13, v2, vcc_lo
	v_lshrrev_b32_e32 v2, 2, v10
	v_lshrrev_b32_e32 v10, 8, v1
	v_bfe_u32 v13, v1, 20, 11
	v_cmp_lt_i32_e32 vcc_lo, 5, v16
	v_lshrrev_b32_e32 v16, 16, v5
	v_and_or_b32 v4, 0x8000, v19, v4
	v_and_or_b32 v0, 0xffe, v10, v0
	v_sub_nc_u32_e32 v10, 0x3f1, v13
	s_or_b32 vcc_lo, s0, vcc_lo
	v_mul_f16_sdwa v17, v48, v16 dst_sel:DWORD dst_unused:UNUSED_PAD src0_sel:WORD_1 src1_sel:DWORD
	v_add_co_ci_u32_e32 v2, vcc_lo, 0, v2, vcc_lo
	v_cmp_ne_u32_e32 vcc_lo, 0, v11
	v_or_b32_e32 v18, 0x1000, v0
	v_med3_i32 v10, v10, 0, 13
	v_mul_f64 v[6:7], v[6:7], s[6:7]
	v_fmac_f16_e32 v17, v48, v5
	v_cndmask_b32_e64 v11, 0, 1, vcc_lo
	v_cmp_gt_i32_e32 vcc_lo, 31, v15
	v_lshrrev_b32_e32 v20, v10, v18
	v_and_b32_e32 v4, 0xffff, v4
	v_cvt_f32_f16_e32 v3, v17
	v_lshl_or_b32 v11, v11, 9, 0x7c00
	v_cndmask_b32_e32 v2, 0x7c00, v2, vcc_lo
	v_cmp_eq_u32_e32 vcc_lo, 0x40f, v15
	v_lshlrev_b32_e32 v10, v10, v20
	s_mul_i32 s0, s9, 0x288
	v_mul_f16_sdwa v5, v48, v5 dst_sel:DWORD dst_unused:UNUSED_PAD src0_sel:WORD_1 src1_sel:DWORD
	s_add_i32 s2, s2, s0
	v_cndmask_b32_e32 v11, v2, v11, vcc_lo
	v_cmp_ne_u32_e32 vcc_lo, v10, v18
	v_cvt_f64_f32_e32 v[2:3], v3
	v_fma_f16 v16, v48, v16, -v5
	v_lshrrev_b32_e32 v1, 16, v1
	v_and_or_b32 v11, 0x8000, v12, v11
	v_cndmask_b32_e64 v10, 0, 1, vcc_lo
	v_add_nc_u32_e32 v12, 0xfffffc10, v13
	v_and_or_b32 v6, 0x1ff, v7, v6
	v_lshl_or_b32 v14, v11, 16, v4
	v_or_b32_e32 v10, v20, v10
	v_lshl_or_b32 v13, v12, 12, v0
	v_cmp_gt_i32_e32 vcc_lo, 1, v12
	v_bfe_u32 v11, v7, 20, 11
	v_cndmask_b32_e32 v4, v13, v10, vcc_lo
	v_cmp_ne_u32_e32 vcc_lo, 0, v6
	v_lshrrev_b32_e32 v10, 8, v7
	v_lshrrev_b32_e32 v7, 16, v7
	v_and_b32_e32 v13, 7, v4
	v_cndmask_b32_e64 v6, 0, 1, vcc_lo
	v_mul_f64 v[2:3], v[2:3], s[6:7]
	v_lshrrev_b32_e32 v4, 2, v4
	v_cmp_lt_i32_e32 vcc_lo, 5, v13
	v_and_or_b32 v6, 0xffe, v10, v6
	v_sub_nc_u32_e32 v10, 0x3f1, v11
	v_cmp_eq_u32_e64 s0, 3, v13
	v_or_b32_e32 v13, 0x1000, v6
	v_med3_i32 v10, v10, 0, 13
	s_or_b32 vcc_lo, s0, vcc_lo
	v_add_co_ci_u32_e32 v15, vcc_lo, 0, v4, vcc_lo
	v_lshrrev_b32_e32 v17, v10, v13
	v_add_co_u32 v4, vcc_lo, v8, s3
	v_add_co_ci_u32_e32 v5, vcc_lo, s2, v9, vcc_lo
	v_lshlrev_b32_e32 v10, v10, v17
	v_cmp_gt_i32_e32 vcc_lo, 31, v12
	v_cvt_f32_f16_e32 v8, v16
	v_and_or_b32 v2, 0x1ff, v3, v2
	v_add_nc_u32_e32 v16, 0xfffffc10, v11
	v_lshrrev_b32_e32 v18, 8, v3
	v_cndmask_b32_e32 v15, 0x7c00, v15, vcc_lo
	v_cmp_ne_u32_e32 vcc_lo, v10, v13
	v_cvt_f64_f32_e32 v[8:9], v8
	v_bfe_u32 v19, v3, 20, 11
	v_add_nc_u32_e32 v10, 0xa00, v42
	global_store_dword v[4:5], v14, off
	v_cndmask_b32_e64 v13, 0, 1, vcc_lo
	v_cmp_ne_u32_e32 vcc_lo, 0, v2
	v_lshrrev_b32_e32 v3, 16, v3
	ds_read2_b32 v[10:11], v10 offset0:8 offset1:170
	v_or_b32_e32 v13, v17, v13
	v_cndmask_b32_e64 v2, 0, 1, vcc_lo
	v_cmp_ne_u32_e32 vcc_lo, 0, v0
	v_lshl_or_b32 v17, v16, 12, v6
	v_and_or_b32 v2, 0xffe, v18, v2
	v_cndmask_b32_e64 v0, 0, 1, vcc_lo
	v_sub_nc_u32_e32 v18, 0x3f1, v19
	v_cmp_gt_i32_e32 vcc_lo, 1, v16
	v_lshl_or_b32 v0, v0, 9, 0x7c00
	v_med3_i32 v18, v18, 0, 13
	v_cndmask_b32_e32 v13, v17, v13, vcc_lo
	v_or_b32_e32 v17, 0x1000, v2
	v_cmp_eq_u32_e32 vcc_lo, 0x40f, v12
	v_mul_f64 v[8:9], v[8:9], s[6:7]
	s_waitcnt lgkmcnt(0)
	v_lshrrev_b32_e32 v14, 16, v10
	v_lshrrev_b32_e32 v12, v18, v17
	v_cndmask_b32_e32 v0, v15, v0, vcc_lo
	v_and_b32_e32 v15, 7, v13
	v_lshrrev_b32_e32 v13, 2, v13
	v_and_or_b32 v20, 0x8000, v1, v0
	v_lshlrev_b32_e32 v0, v18, v12
	v_cmp_lt_i32_e32 vcc_lo, 5, v15
	v_cmp_eq_u32_e64 s0, 3, v15
	v_add_nc_u32_e32 v15, 0xfffffc10, v19
	v_mul_f16_sdwa v1, v47, v14 dst_sel:DWORD dst_unused:UNUSED_PAD src0_sel:WORD_1 src1_sel:DWORD
	v_cmp_ne_u32_e64 s1, v0, v17
	s_or_b32 vcc_lo, s0, vcc_lo
	v_lshl_or_b32 v17, v15, 12, v2
	v_add_co_ci_u32_e32 v13, vcc_lo, 0, v13, vcc_lo
	v_cndmask_b32_e64 v0, 0, 1, s1
	v_cmp_ne_u32_e32 vcc_lo, 0, v6
	v_and_or_b32 v8, 0x1ff, v9, v8
	v_fmac_f16_e32 v1, v47, v10
	v_bfe_u32 v18, v9, 20, 11
	v_or_b32_e32 v12, v12, v0
	v_cndmask_b32_e64 v6, 0, 1, vcc_lo
	v_cmp_gt_i32_e32 vcc_lo, 1, v15
	v_cvt_f32_f16_e32 v0, v1
	v_mul_f16_sdwa v10, v47, v10 dst_sel:DWORD dst_unused:UNUSED_PAD src0_sel:WORD_1 src1_sel:DWORD
	v_lshl_or_b32 v6, v6, 9, 0x7c00
	v_cndmask_b32_e32 v12, v17, v12, vcc_lo
	v_cmp_ne_u32_e32 vcc_lo, 0, v8
	v_lshrrev_b32_e32 v17, 8, v9
	v_cvt_f64_f32_e32 v[0:1], v0
	v_lshrrev_b32_e32 v9, 16, v9
	v_and_b32_e32 v19, 7, v12
	v_cndmask_b32_e64 v8, 0, 1, vcc_lo
	v_cmp_gt_i32_e32 vcc_lo, 31, v16
	v_cmp_eq_u32_e64 s0, 3, v19
	v_and_or_b32 v8, 0xffe, v17, v8
	v_cndmask_b32_e32 v13, 0x7c00, v13, vcc_lo
	v_sub_nc_u32_e32 v17, 0x3f1, v18
	v_cmp_eq_u32_e32 vcc_lo, 0x40f, v16
	v_med3_i32 v16, v17, 0, 13
	v_cndmask_b32_e32 v6, v13, v6, vcc_lo
	v_or_b32_e32 v13, 0x1000, v8
	v_cmp_lt_i32_e32 vcc_lo, 5, v19
	v_and_or_b32 v19, 0x8000, v7, v6
	v_lshrrev_b32_e32 v17, v16, v13
	v_lshrrev_b32_e32 v6, 2, v12
	v_fma_f16 v7, v47, v14, -v10
	s_or_b32 vcc_lo, s0, vcc_lo
	v_mul_f64 v[0:1], v[0:1], s[6:7]
	v_lshlrev_b32_e32 v10, v16, v17
	v_add_co_ci_u32_e32 v12, vcc_lo, 0, v6, vcc_lo
	v_cvt_f32_f16_e32 v6, v7
	v_cmp_ne_u32_e32 vcc_lo, v10, v13
	v_add_nc_u32_e32 v13, 0xfffffc10, v18
	v_cvt_f64_f32_e32 v[6:7], v6
	v_cndmask_b32_e64 v10, 0, 1, vcc_lo
	v_cmp_ne_u32_e32 vcc_lo, 0, v2
	v_lshl_or_b32 v14, v13, 12, v8
	v_or_b32_e32 v10, v17, v10
	v_cndmask_b32_e64 v2, 0, 1, vcc_lo
	v_cmp_gt_i32_e32 vcc_lo, 31, v15
	v_lshrrev_b32_e32 v17, 16, v11
	v_lshl_or_b32 v2, v2, 9, 0x7c00
	v_cndmask_b32_e32 v12, 0x7c00, v12, vcc_lo
	v_cmp_gt_i32_e32 vcc_lo, 1, v13
	v_and_or_b32 v0, 0x1ff, v1, v0
	v_bfe_u32 v16, v1, 20, 11
	v_cndmask_b32_e32 v10, v14, v10, vcc_lo
	v_cmp_eq_u32_e32 vcc_lo, 0x40f, v15
	v_lshrrev_b32_e32 v15, 8, v1
	v_mul_f64 v[6:7], v[6:7], s[6:7]
	v_and_b32_e32 v14, 0xffff, v20
	v_cndmask_b32_e32 v2, v12, v2, vcc_lo
	v_and_b32_e32 v12, 7, v10
	v_cmp_ne_u32_e32 vcc_lo, 0, v0
	v_lshrrev_b32_e32 v10, 2, v10
	v_lshl_or_b32 v14, v19, 16, v14
	v_cmp_eq_u32_e64 s0, 3, v12
	v_cndmask_b32_e64 v0, 0, 1, vcc_lo
	v_cmp_lt_i32_e32 vcc_lo, 5, v12
	v_sub_nc_u32_e32 v12, 0x3f1, v16
	v_and_or_b32 v0, 0xffe, v15, v0
	s_or_b32 vcc_lo, s0, vcc_lo
	v_med3_i32 v12, v12, 0, 13
	v_add_co_ci_u32_e32 v10, vcc_lo, 0, v10, vcc_lo
	v_cmp_ne_u32_e32 vcc_lo, 0, v8
	v_or_b32_e32 v15, 0x1000, v0
	v_cndmask_b32_e64 v8, 0, 1, vcc_lo
	v_cmp_gt_i32_e32 vcc_lo, 31, v13
	v_lshrrev_b32_e32 v18, v12, v15
	v_lshl_or_b32 v8, v8, 9, 0x7c00
	v_cndmask_b32_e32 v10, 0x7c00, v10, vcc_lo
	v_cmp_eq_u32_e32 vcc_lo, 0x40f, v13
	v_lshlrev_b32_e32 v12, v12, v18
	v_and_or_b32 v13, 0x8000, v3, v2
	v_and_or_b32 v2, 0x1ff, v7, v6
	v_cndmask_b32_e32 v8, v10, v8, vcc_lo
	v_mul_f16_sdwa v10, v46, v17 dst_sel:DWORD dst_unused:UNUSED_PAD src0_sel:WORD_1 src1_sel:DWORD
	v_cmp_ne_u32_e32 vcc_lo, v12, v15
	v_add_nc_u32_e32 v15, 0xfffffc10, v16
	v_bfe_u32 v12, v7, 20, 11
	v_and_or_b32 v8, 0x8000, v9, v8
	v_fmac_f16_e32 v10, v46, v11
	v_cndmask_b32_e64 v6, 0, 1, vcc_lo
	v_cmp_ne_u32_e32 vcc_lo, 0, v2
	v_lshl_or_b32 v16, v15, 12, v0
	v_mul_f16_sdwa v11, v46, v11 dst_sel:DWORD dst_unused:UNUSED_PAD src0_sel:WORD_1 src1_sel:DWORD
	v_cvt_f32_f16_e32 v3, v10
	v_lshrrev_b32_e32 v10, 8, v7
	v_cndmask_b32_e64 v9, 0, 1, vcc_lo
	v_or_b32_e32 v6, v18, v6
	v_cmp_gt_i32_e32 vcc_lo, 1, v15
	v_cvt_f64_f32_e32 v[2:3], v3
	v_and_or_b32 v18, 0xffe, v10, v9
	v_sub_nc_u32_e32 v9, 0x3f1, v12
	v_and_b32_e32 v10, 0xffff, v13
	v_cndmask_b32_e32 v6, v16, v6, vcc_lo
	v_add_co_u32 v4, vcc_lo, v4, s3
	v_or_b32_e32 v13, 0x1000, v18
	v_med3_i32 v16, v9, 0, 13
	v_add_co_ci_u32_e32 v5, vcc_lo, s2, v5, vcc_lo
	v_lshl_or_b32 v19, v8, 16, v10
	v_and_b32_e32 v10, 7, v6
	v_lshrrev_b32_e32 v20, v16, v13
	v_add_co_u32 v8, vcc_lo, v4, s3
	v_add_co_ci_u32_e32 v9, vcc_lo, s2, v5, vcc_lo
	v_lshlrev_b32_e32 v16, v16, v20
	v_cmp_lt_i32_e32 vcc_lo, 5, v10
	v_cmp_eq_u32_e64 s0, 3, v10
	v_mul_f64 v[2:3], v[2:3], s[6:7]
	v_fma_f16 v10, v46, v17, -v11
	v_lshrrev_b32_e32 v6, 2, v6
	v_cmp_ne_u32_e64 s1, v16, v13
	s_or_b32 vcc_lo, s0, vcc_lo
	v_add_nc_u32_e32 v16, 0xfffffc10, v12
	v_cvt_f32_f16_e32 v10, v10
	v_add_co_ci_u32_e32 v6, vcc_lo, 0, v6, vcc_lo
	v_cndmask_b32_e64 v11, 0, 1, s1
	v_cmp_ne_u32_e32 vcc_lo, 0, v0
	v_add_nc_u32_e32 v12, 0xe00, v42
	v_or_b32_e32 v17, v20, v11
	v_cvt_f64_f32_e32 v[10:11], v10
	v_lshl_or_b32 v20, v16, 12, v18
	v_cndmask_b32_e64 v0, 0, 1, vcc_lo
	v_cmp_gt_i32_e32 vcc_lo, 1, v16
	ds_read2_b32 v[12:13], v12 offset0:76 offset1:238
	global_store_dword v[4:5], v14, off
	global_store_dword v[8:9], v19, off
	v_and_or_b32 v2, 0x1ff, v3, v2
	v_cndmask_b32_e32 v17, v20, v17, vcc_lo
	v_cmp_gt_i32_e32 vcc_lo, 31, v15
	v_lshl_or_b32 v0, v0, 9, 0x7c00
	v_lshrrev_b32_e32 v21, 8, v3
	v_bfe_u32 v22, v3, 20, 11
	v_and_b32_e32 v20, 7, v17
	v_cndmask_b32_e32 v6, 0x7c00, v6, vcc_lo
	v_cmp_ne_u32_e32 vcc_lo, 0, v2
	v_lshrrev_b32_e32 v3, 16, v3
	v_cmp_eq_u32_e64 s0, 3, v20
	v_cndmask_b32_e64 v2, 0, 1, vcc_lo
	v_cmp_eq_u32_e32 vcc_lo, 0x40f, v15
	v_lshrrev_b32_e32 v15, 16, v1
	v_and_or_b32 v2, 0xffe, v21, v2
	v_cndmask_b32_e32 v6, v6, v0, vcc_lo
	v_cmp_lt_i32_e32 vcc_lo, 5, v20
	v_mul_f64 v[0:1], v[10:11], s[6:7]
	v_lshrrev_b32_e32 v11, 2, v17
	v_sub_nc_u32_e32 v21, 0x3f1, v22
	v_or_b32_e32 v17, 0x1000, v2
	s_or_b32 vcc_lo, s0, vcc_lo
	s_waitcnt lgkmcnt(0)
	v_lshrrev_b32_e32 v10, 16, v12
	v_add_co_ci_u32_e32 v11, vcc_lo, 0, v11, vcc_lo
	v_med3_i32 v20, v21, 0, 13
	v_cmp_ne_u32_e32 vcc_lo, 0, v18
	v_mul_f16_sdwa v21, v45, v10 dst_sel:DWORD dst_unused:UNUSED_PAD src0_sel:WORD_1 src1_sel:DWORD
	v_and_or_b32 v15, 0x8000, v15, v6
	v_lshrrev_b32_e32 v23, v20, v17
	v_cndmask_b32_e64 v18, 0, 1, vcc_lo
	v_cmp_gt_i32_e32 vcc_lo, 31, v16
	v_fmac_f16_e32 v21, v45, v12
	v_and_b32_e32 v15, 0xffff, v15
	v_lshlrev_b32_e32 v20, v20, v23
	v_lshl_or_b32 v18, v18, 9, 0x7c00
	v_cndmask_b32_e32 v11, 0x7c00, v11, vcc_lo
	v_cmp_eq_u32_e32 vcc_lo, 0x40f, v16
	v_and_or_b32 v0, 0x1ff, v1, v0
	v_cvt_f32_f16_e32 v6, v21
	v_lshrrev_b32_e32 v16, 16, v7
	v_bfe_u32 v21, v1, 20, 11
	v_cndmask_b32_e32 v11, v11, v18, vcc_lo
	v_cmp_ne_u32_e32 vcc_lo, v20, v17
	v_cvt_f64_f32_e32 v[6:7], v6
	v_add_nc_u32_e32 v18, 0xfffffc10, v22
	v_lshrrev_b32_e32 v20, 8, v1
	v_and_or_b32 v11, 0x8000, v16, v11
	v_cndmask_b32_e64 v17, 0, 1, vcc_lo
	v_cmp_ne_u32_e32 vcc_lo, 0, v0
	v_lshl_or_b32 v11, v11, 16, v15
	v_or_b32_e32 v16, v23, v17
	v_cndmask_b32_e64 v0, 0, 1, vcc_lo
	v_lshl_or_b32 v17, v18, 12, v2
	v_cmp_gt_i32_e32 vcc_lo, 1, v18
	v_and_or_b32 v0, 0xffe, v20, v0
	v_sub_nc_u32_e32 v20, 0x3f1, v21
	v_cndmask_b32_e32 v16, v17, v16, vcc_lo
	v_or_b32_e32 v17, 0x1000, v0
	v_med3_i32 v20, v20, 0, 13
	v_and_b32_e32 v14, 7, v16
	v_mul_f64 v[4:5], v[6:7], s[6:7]
	v_add_co_u32 v6, vcc_lo, v8, s3
	v_lshrrev_b32_e32 v15, v20, v17
	v_add_co_ci_u32_e32 v7, vcc_lo, s2, v9, vcc_lo
	v_cmp_lt_i32_e32 vcc_lo, 5, v14
	v_cmp_eq_u32_e64 s0, 3, v14
	v_lshlrev_b32_e32 v8, v20, v15
	v_mul_f16_sdwa v9, v45, v12 dst_sel:DWORD dst_unused:UNUSED_PAD src0_sel:WORD_1 src1_sel:DWORD
	v_lshrrev_b32_e32 v12, 2, v16
	global_store_dword v[6:7], v11, off
	s_or_b32 vcc_lo, s0, vcc_lo
	v_cmp_ne_u32_e64 s1, v8, v17
	v_fma_f16 v9, v45, v10, -v9
	v_add_co_ci_u32_e32 v12, vcc_lo, 0, v12, vcc_lo
	v_add_nc_u32_e32 v10, 0xfffffc10, v21
	v_cndmask_b32_e64 v8, 0, 1, s1
	v_cmp_ne_u32_e32 vcc_lo, 0, v2
	v_cvt_f32_f16_e32 v9, v9
	v_and_or_b32 v4, 0x1ff, v5, v4
	v_or_b32_e32 v14, v15, v8
	v_lshl_or_b32 v15, v10, 12, v0
	v_cndmask_b32_e64 v2, 0, 1, vcc_lo
	v_cmp_gt_i32_e32 vcc_lo, 1, v10
	v_cvt_f64_f32_e32 v[8:9], v9
	v_lshrrev_b32_e32 v16, 8, v5
	v_bfe_u32 v17, v5, 20, 11
	v_lshl_or_b32 v2, v2, 9, 0x7c00
	v_cndmask_b32_e32 v14, v15, v14, vcc_lo
	v_cmp_gt_i32_e32 vcc_lo, 31, v18
	v_lshrrev_b32_e32 v5, 16, v5
	v_and_b32_e32 v15, 7, v14
	v_cndmask_b32_e32 v12, 0x7c00, v12, vcc_lo
	v_cmp_ne_u32_e32 vcc_lo, 0, v4
	v_lshrrev_b32_e32 v14, 2, v14
	v_cmp_eq_u32_e64 s0, 3, v15
	v_cndmask_b32_e64 v4, 0, 1, vcc_lo
	v_cmp_eq_u32_e32 vcc_lo, 0x40f, v18
	v_and_or_b32 v4, 0xffe, v16, v4
	v_cndmask_b32_e32 v2, v12, v2, vcc_lo
	v_cmp_lt_i32_e32 vcc_lo, 5, v15
	v_lshrrev_b32_e32 v15, 16, v13
	v_mul_f64 v[8:9], v[8:9], s[6:7]
	v_sub_nc_u32_e32 v12, 0x3f1, v17
	v_or_b32_e32 v16, 0x1000, v4
	s_or_b32 vcc_lo, s0, vcc_lo
	v_mul_f16_sdwa v18, v44, v15 dst_sel:DWORD dst_unused:UNUSED_PAD src0_sel:WORD_1 src1_sel:DWORD
	v_add_co_ci_u32_e32 v14, vcc_lo, 0, v14, vcc_lo
	v_cmp_ne_u32_e32 vcc_lo, 0, v0
	v_med3_i32 v12, v12, 0, 13
	v_fmac_f16_e32 v18, v44, v13
	v_and_or_b32 v2, 0x8000, v3, v2
	v_mul_f16_sdwa v13, v44, v13 dst_sel:DWORD dst_unused:UNUSED_PAD src0_sel:WORD_1 src1_sel:DWORD
	v_cndmask_b32_e64 v0, 0, 1, vcc_lo
	v_cmp_gt_i32_e32 vcc_lo, 31, v10
	v_lshrrev_b32_e32 v19, v12, v16
	v_cvt_f32_f16_e32 v18, v18
	v_and_b32_e32 v2, 0xffff, v2
	v_lshl_or_b32 v0, v0, 9, 0x7c00
	v_cndmask_b32_e32 v14, 0x7c00, v14, vcc_lo
	v_cmp_eq_u32_e32 vcc_lo, 0x40f, v10
	v_lshlrev_b32_e32 v12, v12, v19
	v_and_or_b32 v8, 0x1ff, v9, v8
	v_cndmask_b32_e32 v10, v14, v0, vcc_lo
	v_lshrrev_b32_e32 v14, 16, v1
	v_cvt_f64_f32_e32 v[0:1], v18
	v_cmp_ne_u32_e32 vcc_lo, v12, v16
	v_add_nc_u32_e32 v16, 0xfffffc10, v17
	v_bfe_u32 v17, v9, 20, 11
	v_and_or_b32 v3, 0x8000, v14, v10
	v_lshrrev_b32_e32 v14, 8, v9
	v_cndmask_b32_e64 v12, 0, 1, vcc_lo
	v_cmp_ne_u32_e32 vcc_lo, 0, v8
	v_lshrrev_b32_e32 v9, 16, v9
	v_or_b32_e32 v10, v19, v12
	v_lshl_or_b32 v12, v16, 12, v4
	v_cndmask_b32_e64 v8, 0, 1, vcc_lo
	v_cmp_gt_i32_e32 vcc_lo, 1, v16
	v_and_or_b32 v8, 0xffe, v14, v8
	v_cndmask_b32_e32 v10, v12, v10, vcc_lo
	v_sub_nc_u32_e32 v12, 0x3f1, v17
	v_lshl_or_b32 v14, v3, 16, v2
	v_mul_f64 v[0:1], v[0:1], s[6:7]
	v_or_b32_e32 v18, 0x1000, v8
	v_and_b32_e32 v11, 7, v10
	v_med3_i32 v12, v12, 0, 13
	v_add_co_u32 v2, vcc_lo, v6, s3
	v_add_co_ci_u32_e32 v3, vcc_lo, s2, v7, vcc_lo
	v_lshrrev_b32_e32 v19, v12, v18
	v_cmp_lt_i32_e32 vcc_lo, 5, v11
	v_cmp_eq_u32_e64 s0, 3, v11
	v_lshrrev_b32_e32 v7, 2, v10
	v_fma_f16 v6, v44, v15, -v13
	v_lshlrev_b32_e32 v10, v12, v19
	v_add_nc_u32_e32 v11, 0x1400, v42
	s_or_b32 vcc_lo, s0, vcc_lo
	v_add_co_ci_u32_e32 v13, vcc_lo, 0, v7, vcc_lo
	v_cmp_ne_u32_e32 vcc_lo, v10, v18
	v_cvt_f32_f16_e32 v12, v6
	ds_read2_b32 v[6:7], v11 offset0:16 offset1:178
	v_and_or_b32 v0, 0x1ff, v1, v0
	v_lshrrev_b32_e32 v18, 8, v1
	v_cndmask_b32_e64 v15, 0, 1, vcc_lo
	v_cmp_gt_i32_e32 vcc_lo, 31, v16
	v_cvt_f64_f32_e32 v[10:11], v12
	v_add_nc_u32_e32 v12, 0xfffffc10, v17
	v_or_b32_e32 v15, v19, v15
	v_cndmask_b32_e32 v13, 0x7c00, v13, vcc_lo
	v_cmp_ne_u32_e32 vcc_lo, 0, v0
	v_lshl_or_b32 v17, v12, 12, v8
	v_bfe_u32 v19, v1, 20, 11
	v_cndmask_b32_e64 v0, 0, 1, vcc_lo
	v_cmp_ne_u32_e32 vcc_lo, 0, v4
	v_and_or_b32 v0, 0xffe, v18, v0
	v_cndmask_b32_e64 v4, 0, 1, vcc_lo
	v_cmp_gt_i32_e32 vcc_lo, 1, v12
	s_waitcnt lgkmcnt(0)
	v_lshrrev_b32_e32 v18, 16, v6
	v_or_b32_e32 v21, 0x1000, v0
	v_lshl_or_b32 v4, v4, 9, 0x7c00
	v_cndmask_b32_e32 v15, v17, v15, vcc_lo
	v_sub_nc_u32_e32 v17, 0x3f1, v19
	v_cmp_eq_u32_e32 vcc_lo, 0x40f, v16
	v_mul_f64 v[10:11], v[10:11], s[6:7]
	v_mul_f16_sdwa v22, v43, v18 dst_sel:DWORD dst_unused:UNUSED_PAD src0_sel:WORD_1 src1_sel:DWORD
	v_and_b32_e32 v20, 7, v15
	v_med3_i32 v17, v17, 0, 13
	v_cndmask_b32_e32 v4, v13, v4, vcc_lo
	v_add_nc_u32_e32 v19, 0xfffffc10, v19
	v_fmac_f16_e32 v22, v43, v6
	v_cmp_lt_i32_e32 vcc_lo, 5, v20
	v_lshrrev_b32_e32 v13, v17, v21
	v_cmp_eq_u32_e64 s0, 3, v20
	v_and_or_b32 v16, 0x8000, v5, v4
	v_lshrrev_b32_e32 v4, 2, v15
	v_cvt_f32_f16_e32 v15, v22
	v_lshlrev_b32_e32 v5, v17, v13
	s_or_b32 vcc_lo, s0, vcc_lo
	v_mul_f16_sdwa v6, v43, v6 dst_sel:DWORD dst_unused:UNUSED_PAD src0_sel:WORD_1 src1_sel:DWORD
	v_add_co_ci_u32_e32 v17, vcc_lo, 0, v4, vcc_lo
	v_cmp_ne_u32_e32 vcc_lo, v5, v21
	v_cvt_f64_f32_e32 v[4:5], v15
	v_lshl_or_b32 v15, v19, 12, v0
	v_fma_f16 v6, v43, v18, -v6
	v_and_or_b32 v10, 0x1ff, v11, v10
	v_cndmask_b32_e64 v20, 0, 1, vcc_lo
	v_cmp_ne_u32_e32 vcc_lo, 0, v8
	v_cvt_f32_f16_e32 v6, v6
	v_or_b32_e32 v13, v13, v20
	v_cndmask_b32_e64 v8, 0, 1, vcc_lo
	v_cmp_gt_i32_e32 vcc_lo, 31, v12
	v_bfe_u32 v20, v11, 20, 11
	v_lshl_or_b32 v8, v8, 9, 0x7c00
	v_cndmask_b32_e32 v17, 0x7c00, v17, vcc_lo
	v_cmp_gt_i32_e32 vcc_lo, 1, v19
	v_cndmask_b32_e32 v13, v15, v13, vcc_lo
	v_cmp_ne_u32_e32 vcc_lo, 0, v10
	v_lshrrev_b32_e32 v15, 8, v11
	v_mul_f64 v[4:5], v[4:5], s[6:7]
	v_and_b32_e32 v21, 7, v13
	v_cndmask_b32_e64 v10, 0, 1, vcc_lo
	v_cmp_eq_u32_e32 vcc_lo, 0x40f, v12
	v_sub_nc_u32_e32 v12, 0x3f1, v20
	v_cmp_eq_u32_e64 s0, 3, v21
	v_and_or_b32 v10, 0xffe, v15, v10
	v_cndmask_b32_e32 v8, v17, v8, vcc_lo
	v_cmp_lt_i32_e32 vcc_lo, 5, v21
	v_med3_i32 v12, v12, 0, 13
	v_or_b32_e32 v15, 0x1000, v10
	v_and_or_b32 v8, 0x8000, v9, v8
	v_lshrrev_b32_e32 v9, 2, v13
	s_or_b32 vcc_lo, s0, vcc_lo
	v_and_b32_e32 v13, 0xffff, v16
	v_lshrrev_b32_e32 v16, v12, v15
	v_add_co_ci_u32_e32 v9, vcc_lo, 0, v9, vcc_lo
	v_cmp_ne_u32_e32 vcc_lo, 0, v0
	v_lshl_or_b32 v17, v8, 16, v13
	v_lshlrev_b32_e32 v8, v12, v16
	v_and_or_b32 v4, 0x1ff, v5, v4
	v_bfe_u32 v18, v5, 20, 11
	v_cndmask_b32_e64 v0, 0, 1, vcc_lo
	v_cmp_gt_i32_e32 vcc_lo, 31, v19
	v_lshl_or_b32 v0, v0, 9, 0x7c00
	v_cndmask_b32_e32 v9, 0x7c00, v9, vcc_lo
	v_cmp_ne_u32_e32 vcc_lo, v8, v15
	v_add_nc_u32_e32 v15, 0xfffffc10, v20
	v_cndmask_b32_e64 v8, 0, 1, vcc_lo
	v_cmp_eq_u32_e32 vcc_lo, 0x40f, v19
	v_lshl_or_b32 v13, v15, 12, v10
	v_cndmask_b32_e32 v12, v9, v0, vcc_lo
	v_cmp_ne_u32_e32 vcc_lo, 0, v4
	v_or_b32_e32 v0, v16, v8
	v_lshrrev_b32_e32 v16, 8, v5
	v_cvt_f64_f32_e32 v[8:9], v6
	v_lshrrev_b32_e32 v5, 16, v5
	v_cndmask_b32_e64 v4, 0, 1, vcc_lo
	v_cmp_gt_i32_e32 vcc_lo, 1, v15
	v_and_or_b32 v4, 0xffe, v16, v4
	v_cndmask_b32_e32 v6, v13, v0, vcc_lo
	v_sub_nc_u32_e32 v0, 0x3f1, v18
	v_lshrrev_b32_e32 v16, 16, v7
	v_lshrrev_b32_e32 v13, 16, v1
	v_or_b32_e32 v20, 0x1000, v4
	v_and_b32_e32 v19, 7, v6
	v_med3_i32 v21, v0, 0, 13
	v_mul_f16_sdwa v22, v41, v16 dst_sel:DWORD dst_unused:UNUSED_PAD src0_sel:WORD_1 src1_sel:DWORD
	v_add_co_u32 v0, vcc_lo, v2, s3
	v_add_co_ci_u32_e32 v1, vcc_lo, s2, v3, vcc_lo
	v_lshrrev_b32_e32 v24, v21, v20
	v_cmp_lt_i32_e32 vcc_lo, 5, v19
	v_cmp_eq_u32_e64 s0, 3, v19
	v_fmac_f16_e32 v22, v41, v7
	v_lshrrev_b32_e32 v6, 2, v6
	v_lshlrev_b32_e32 v19, v21, v24
	v_and_or_b32 v23, 0x8000, v13, v12
	s_or_b32 vcc_lo, s0, vcc_lo
	v_cvt_f32_f16_e32 v12, v22
	v_add_co_ci_u32_e32 v6, vcc_lo, 0, v6, vcc_lo
	v_mul_f64 v[8:9], v[8:9], s[6:7]
	v_cmp_ne_u32_e32 vcc_lo, v19, v20
	v_cvt_f64_f32_e32 v[12:13], v12
	v_add_nc_u32_e32 v18, 0xfffffc10, v18
	v_mul_f16_sdwa v7, v41, v7 dst_sel:DWORD dst_unused:UNUSED_PAD src0_sel:WORD_1 src1_sel:DWORD
	v_cndmask_b32_e64 v19, 0, 1, vcc_lo
	v_cmp_ne_u32_e32 vcc_lo, 0, v10
	v_lshl_or_b32 v20, v18, 12, v4
	v_fma_f16 v7, v41, v16, -v7
	v_or_b32_e32 v19, v24, v19
	v_cndmask_b32_e64 v10, 0, 1, vcc_lo
	v_cmp_gt_i32_e32 vcc_lo, 31, v15
	v_cvt_f32_f16_e32 v7, v7
	v_lshl_or_b32 v10, v10, 9, 0x7c00
	v_cndmask_b32_e32 v6, 0x7c00, v6, vcc_lo
	v_cmp_gt_i32_e32 vcc_lo, 1, v18
	v_and_or_b32 v8, 0x1ff, v9, v8
	v_cndmask_b32_e32 v16, v20, v19, vcc_lo
	v_cmp_eq_u32_e32 vcc_lo, 0x40f, v15
	v_lshrrev_b32_e32 v19, 16, v11
	v_and_b32_e32 v20, 7, v16
	v_cndmask_b32_e32 v15, v6, v10, vcc_lo
	v_mul_f64 v[10:11], v[12:13], s[6:7]
	v_cvt_f64_f32_e32 v[6:7], v7
	v_cmp_ne_u32_e32 vcc_lo, 0, v8
	v_lshrrev_b32_e32 v12, 8, v9
	v_bfe_u32 v13, v9, 20, 11
	v_cmp_eq_u32_e64 s0, 3, v20
	v_lshrrev_b32_e32 v16, 2, v16
	v_cndmask_b32_e64 v8, 0, 1, vcc_lo
	v_cmp_lt_i32_e32 vcc_lo, 5, v20
	v_and_or_b32 v15, 0x8000, v19, v15
	v_and_b32_e32 v19, 0xffff, v23
	v_lshrrev_b32_e32 v9, 16, v9
	v_and_or_b32 v8, 0xffe, v12, v8
	v_sub_nc_u32_e32 v12, 0x3f1, v13
	s_or_b32 vcc_lo, s0, vcc_lo
	v_lshl_or_b32 v15, v15, 16, v19
	v_add_co_ci_u32_e32 v16, vcc_lo, 0, v16, vcc_lo
	v_or_b32_e32 v19, 0x1000, v8
	v_med3_i32 v12, v12, 0, 13
	v_cmp_ne_u32_e32 vcc_lo, 0, v4
	v_add_nc_u32_e32 v13, 0xfffffc10, v13
	v_and_or_b32 v10, 0x1ff, v11, v10
	v_mul_f64 v[6:7], v[6:7], s[6:7]
	v_lshrrev_b32_e32 v20, v12, v19
	v_cndmask_b32_e64 v4, 0, 1, vcc_lo
	v_cmp_gt_i32_e32 vcc_lo, 31, v18
	v_lshrrev_b32_e32 v21, 8, v11
	v_bfe_u32 v22, v11, 20, 11
	v_lshlrev_b32_e32 v12, v12, v20
	v_lshl_or_b32 v4, v4, 9, 0x7c00
	v_cndmask_b32_e32 v16, 0x7c00, v16, vcc_lo
	v_cmp_ne_u32_e32 vcc_lo, 0, v10
	v_lshrrev_b32_e32 v11, 16, v11
	v_cndmask_b32_e64 v10, 0, 1, vcc_lo
	v_cmp_ne_u32_e32 vcc_lo, v12, v19
	v_sub_nc_u32_e32 v19, 0x3f1, v22
	v_and_or_b32 v10, 0xffe, v21, v10
	v_cndmask_b32_e64 v12, 0, 1, vcc_lo
	v_cmp_eq_u32_e32 vcc_lo, 0x40f, v18
	v_med3_i32 v19, v19, 0, 13
	v_and_or_b32 v6, 0x1ff, v7, v6
	v_or_b32_e32 v18, 0x1000, v10
	v_or_b32_e32 v12, v20, v12
	v_cndmask_b32_e32 v4, v16, v4, vcc_lo
	v_lshl_or_b32 v16, v13, 12, v8
	v_cmp_gt_i32_e32 vcc_lo, 1, v13
	v_lshrrev_b32_e32 v20, 8, v7
	v_bfe_u32 v21, v7, 20, 11
	v_and_or_b32 v4, 0x8000, v5, v4
	v_lshrrev_b32_e32 v7, 16, v7
	v_cndmask_b32_e32 v12, v16, v12, vcc_lo
	v_lshrrev_b32_e32 v16, v19, v18
	v_cmp_ne_u32_e32 vcc_lo, 0, v6
	v_and_b32_e32 v23, 7, v12
	v_lshlrev_b32_e32 v19, v19, v16
	v_cndmask_b32_e64 v6, 0, 1, vcc_lo
	v_lshrrev_b32_e32 v12, 2, v12
	v_cmp_lt_i32_e32 vcc_lo, 5, v23
	v_cmp_ne_u32_e64 s0, v19, v18
	v_and_or_b32 v5, 0xffe, v20, v6
	v_sub_nc_u32_e32 v6, 0x3f1, v21
	v_add_nc_u32_e32 v20, 0xfffffc10, v22
	v_cndmask_b32_e64 v18, 0, 1, s0
	v_cmp_eq_u32_e64 s0, 3, v23
	v_or_b32_e32 v19, 0x1000, v5
	v_med3_i32 v6, v6, 0, 13
	v_lshl_or_b32 v22, v20, 12, v10
	v_or_b32_e32 v16, v16, v18
	s_or_b32 vcc_lo, s0, vcc_lo
	v_add_co_ci_u32_e32 v12, vcc_lo, 0, v12, vcc_lo
	v_lshrrev_b32_e32 v18, v6, v19
	v_cmp_gt_i32_e32 vcc_lo, 1, v20
	v_lshlrev_b32_e32 v6, v6, v18
	v_cndmask_b32_e32 v16, v22, v16, vcc_lo
	v_cmp_ne_u32_e32 vcc_lo, 0, v8
	v_cndmask_b32_e64 v8, 0, 1, vcc_lo
	v_cmp_ne_u32_e32 vcc_lo, v6, v19
	v_add_nc_u32_e32 v19, 0xfffffc10, v21
	v_and_b32_e32 v21, 7, v16
	v_lshl_or_b32 v8, v8, 9, 0x7c00
	v_cndmask_b32_e64 v6, 0, 1, vcc_lo
	v_cmp_gt_i32_e32 vcc_lo, 31, v13
	v_cmp_gt_i32_e64 s1, 1, v19
	v_cmp_eq_u32_e64 s0, 3, v21
	v_or_b32_e32 v6, v18, v6
	v_lshl_or_b32 v18, v19, 12, v5
	v_cndmask_b32_e32 v12, 0x7c00, v12, vcc_lo
	v_cmp_lt_i32_e32 vcc_lo, 5, v21
	v_cndmask_b32_e64 v6, v18, v6, s1
	v_cmp_eq_u32_e64 s1, 0x40f, v13
	s_or_b32 vcc_lo, s0, vcc_lo
	v_and_b32_e32 v13, 7, v6
	v_cndmask_b32_e64 v8, v12, v8, s1
	v_lshrrev_b32_e32 v12, 2, v16
	v_lshrrev_b32_e32 v6, 2, v6
	v_cmp_gt_i32_e64 s1, 31, v20
	v_cmp_eq_u32_e64 s0, 3, v13
	v_and_or_b32 v8, 0x8000, v9, v8
	v_add_co_ci_u32_e32 v12, vcc_lo, 0, v12, vcc_lo
	v_cmp_ne_u32_e32 vcc_lo, 0, v10
	v_and_b32_e32 v9, 0xffff, v4
	v_cndmask_b32_e64 v12, 0x7c00, v12, s1
	v_cndmask_b32_e64 v10, 0, 1, vcc_lo
	v_cmp_lt_i32_e32 vcc_lo, 5, v13
	v_lshl_or_b32 v10, v10, 9, 0x7c00
	s_or_b32 vcc_lo, s0, vcc_lo
	v_add_co_ci_u32_e32 v6, vcc_lo, 0, v6, vcc_lo
	v_cmp_ne_u32_e32 vcc_lo, 0, v5
	v_cndmask_b32_e64 v5, 0, 1, vcc_lo
	v_cmp_eq_u32_e32 vcc_lo, 0x40f, v20
	v_lshl_or_b32 v5, v5, 9, 0x7c00
	v_cndmask_b32_e32 v10, v12, v10, vcc_lo
	v_cmp_gt_i32_e32 vcc_lo, 31, v19
	v_and_or_b32 v10, 0x8000, v11, v10
	v_cndmask_b32_e32 v6, 0x7c00, v6, vcc_lo
	v_cmp_eq_u32_e32 vcc_lo, 0x40f, v19
	v_lshl_or_b32 v11, v8, 16, v9
	v_and_b32_e32 v9, 0xffff, v10
	v_cndmask_b32_e32 v6, v6, v5, vcc_lo
	v_add_co_u32 v4, vcc_lo, v0, s3
	v_add_co_ci_u32_e32 v5, vcc_lo, s2, v1, vcc_lo
	v_and_or_b32 v8, 0x8000, v7, v6
	v_add_co_u32 v6, vcc_lo, v4, s3
	v_add_co_ci_u32_e32 v7, vcc_lo, s2, v5, vcc_lo
	v_lshl_or_b32 v10, v8, 16, v9
	v_add_co_u32 v8, vcc_lo, v6, s3
	v_add_co_ci_u32_e32 v9, vcc_lo, s2, v7, vcc_lo
	global_store_dword v[2:3], v14, off
	global_store_dword v[0:1], v17, off
	;; [unrolled: 1-line block ×5, first 2 shown]
.LBB0_34:
	s_endpgm
	.section	.rodata,"a",@progbits
	.p2align	6, 0x0
	.amdhsa_kernel bluestein_single_back_len1620_dim1_half_op_CI_CI
		.amdhsa_group_segment_fixed_size 6480
		.amdhsa_private_segment_fixed_size 0
		.amdhsa_kernarg_size 104
		.amdhsa_user_sgpr_count 6
		.amdhsa_user_sgpr_private_segment_buffer 1
		.amdhsa_user_sgpr_dispatch_ptr 0
		.amdhsa_user_sgpr_queue_ptr 0
		.amdhsa_user_sgpr_kernarg_segment_ptr 1
		.amdhsa_user_sgpr_dispatch_id 0
		.amdhsa_user_sgpr_flat_scratch_init 0
		.amdhsa_user_sgpr_private_segment_size 0
		.amdhsa_wavefront_size32 1
		.amdhsa_uses_dynamic_stack 0
		.amdhsa_system_sgpr_private_segment_wavefront_offset 0
		.amdhsa_system_sgpr_workgroup_id_x 1
		.amdhsa_system_sgpr_workgroup_id_y 0
		.amdhsa_system_sgpr_workgroup_id_z 0
		.amdhsa_system_sgpr_workgroup_info 0
		.amdhsa_system_vgpr_workitem_id 0
		.amdhsa_next_free_vgpr 110
		.amdhsa_next_free_sgpr 20
		.amdhsa_reserve_vcc 1
		.amdhsa_reserve_flat_scratch 0
		.amdhsa_float_round_mode_32 0
		.amdhsa_float_round_mode_16_64 0
		.amdhsa_float_denorm_mode_32 3
		.amdhsa_float_denorm_mode_16_64 3
		.amdhsa_dx10_clamp 1
		.amdhsa_ieee_mode 1
		.amdhsa_fp16_overflow 0
		.amdhsa_workgroup_processor_mode 1
		.amdhsa_memory_ordered 1
		.amdhsa_forward_progress 0
		.amdhsa_shared_vgpr_count 0
		.amdhsa_exception_fp_ieee_invalid_op 0
		.amdhsa_exception_fp_denorm_src 0
		.amdhsa_exception_fp_ieee_div_zero 0
		.amdhsa_exception_fp_ieee_overflow 0
		.amdhsa_exception_fp_ieee_underflow 0
		.amdhsa_exception_fp_ieee_inexact 0
		.amdhsa_exception_int_div_zero 0
	.end_amdhsa_kernel
	.text
.Lfunc_end0:
	.size	bluestein_single_back_len1620_dim1_half_op_CI_CI, .Lfunc_end0-bluestein_single_back_len1620_dim1_half_op_CI_CI
                                        ; -- End function
	.section	.AMDGPU.csdata,"",@progbits
; Kernel info:
; codeLenInByte = 18668
; NumSgprs: 22
; NumVgprs: 110
; ScratchSize: 0
; MemoryBound: 0
; FloatMode: 240
; IeeeMode: 1
; LDSByteSize: 6480 bytes/workgroup (compile time only)
; SGPRBlocks: 2
; VGPRBlocks: 13
; NumSGPRsForWavesPerEU: 22
; NumVGPRsForWavesPerEU: 110
; Occupancy: 9
; WaveLimiterHint : 1
; COMPUTE_PGM_RSRC2:SCRATCH_EN: 0
; COMPUTE_PGM_RSRC2:USER_SGPR: 6
; COMPUTE_PGM_RSRC2:TRAP_HANDLER: 0
; COMPUTE_PGM_RSRC2:TGID_X_EN: 1
; COMPUTE_PGM_RSRC2:TGID_Y_EN: 0
; COMPUTE_PGM_RSRC2:TGID_Z_EN: 0
; COMPUTE_PGM_RSRC2:TIDIG_COMP_CNT: 0
	.text
	.p2alignl 6, 3214868480
	.fill 48, 4, 3214868480
	.type	__hip_cuid_6704b79e067873aa,@object ; @__hip_cuid_6704b79e067873aa
	.section	.bss,"aw",@nobits
	.globl	__hip_cuid_6704b79e067873aa
__hip_cuid_6704b79e067873aa:
	.byte	0                               ; 0x0
	.size	__hip_cuid_6704b79e067873aa, 1

	.ident	"AMD clang version 19.0.0git (https://github.com/RadeonOpenCompute/llvm-project roc-6.4.0 25133 c7fe45cf4b819c5991fe208aaa96edf142730f1d)"
	.section	".note.GNU-stack","",@progbits
	.addrsig
	.addrsig_sym __hip_cuid_6704b79e067873aa
	.amdgpu_metadata
---
amdhsa.kernels:
  - .args:
      - .actual_access:  read_only
        .address_space:  global
        .offset:         0
        .size:           8
        .value_kind:     global_buffer
      - .actual_access:  read_only
        .address_space:  global
        .offset:         8
        .size:           8
        .value_kind:     global_buffer
      - .actual_access:  read_only
        .address_space:  global
        .offset:         16
        .size:           8
        .value_kind:     global_buffer
      - .actual_access:  read_only
        .address_space:  global
        .offset:         24
        .size:           8
        .value_kind:     global_buffer
      - .actual_access:  read_only
        .address_space:  global
        .offset:         32
        .size:           8
        .value_kind:     global_buffer
      - .offset:         40
        .size:           8
        .value_kind:     by_value
      - .address_space:  global
        .offset:         48
        .size:           8
        .value_kind:     global_buffer
      - .address_space:  global
        .offset:         56
        .size:           8
        .value_kind:     global_buffer
      - .address_space:  global
        .offset:         64
        .size:           8
        .value_kind:     global_buffer
      - .address_space:  global
        .offset:         72
        .size:           8
        .value_kind:     global_buffer
      - .offset:         80
        .size:           4
        .value_kind:     by_value
      - .address_space:  global
        .offset:         88
        .size:           8
        .value_kind:     global_buffer
      - .address_space:  global
        .offset:         96
        .size:           8
        .value_kind:     global_buffer
    .group_segment_fixed_size: 6480
    .kernarg_segment_align: 8
    .kernarg_segment_size: 104
    .language:       OpenCL C
    .language_version:
      - 2
      - 0
    .max_flat_workgroup_size: 162
    .name:           bluestein_single_back_len1620_dim1_half_op_CI_CI
    .private_segment_fixed_size: 0
    .sgpr_count:     22
    .sgpr_spill_count: 0
    .symbol:         bluestein_single_back_len1620_dim1_half_op_CI_CI.kd
    .uniform_work_group_size: 1
    .uses_dynamic_stack: false
    .vgpr_count:     110
    .vgpr_spill_count: 0
    .wavefront_size: 32
    .workgroup_processor_mode: 1
amdhsa.target:   amdgcn-amd-amdhsa--gfx1030
amdhsa.version:
  - 1
  - 2
...

	.end_amdgpu_metadata
